;; amdgpu-corpus repo=ROCm/rocFFT kind=compiled arch=gfx906 opt=O3
	.text
	.amdgcn_target "amdgcn-amd-amdhsa--gfx906"
	.amdhsa_code_object_version 6
	.protected	bluestein_single_back_len1848_dim1_sp_op_CI_CI ; -- Begin function bluestein_single_back_len1848_dim1_sp_op_CI_CI
	.globl	bluestein_single_back_len1848_dim1_sp_op_CI_CI
	.p2align	8
	.type	bluestein_single_back_len1848_dim1_sp_op_CI_CI,@function
bluestein_single_back_len1848_dim1_sp_op_CI_CI: ; @bluestein_single_back_len1848_dim1_sp_op_CI_CI
; %bb.0:
	s_load_dwordx4 s[8:11], s[4:5], 0x28
	v_mul_u32_u24_e32 v1, 0x11c, v0
	v_add_u32_sdwa v72, s6, v1 dst_sel:DWORD dst_unused:UNUSED_PAD src0_sel:DWORD src1_sel:WORD_1
	v_mov_b32_e32 v73, 0
	s_waitcnt lgkmcnt(0)
	v_cmp_gt_u64_e32 vcc, s[8:9], v[72:73]
	s_and_saveexec_b64 s[0:1], vcc
	s_cbranch_execz .LBB0_31
; %bb.1:
	s_load_dwordx4 s[0:3], s[4:5], 0x18
	s_load_dwordx2 s[16:17], s[4:5], 0x0
	s_waitcnt lgkmcnt(0)
	s_load_dwordx4 s[12:15], s[0:1], 0x0
	s_movk_i32 s0, 0xe7
	v_mul_lo_u16_sdwa v1, v1, s0 dst_sel:DWORD dst_unused:UNUSED_PAD src0_sel:WORD_1 src1_sel:DWORD
	v_sub_u16_e32 v108, v0, v1
	v_lshlrev_b32_e32 v107, 3, v108
	s_waitcnt lgkmcnt(0)
	v_mad_u64_u32 v[0:1], s[0:1], s14, v72, 0
	v_mad_u64_u32 v[2:3], s[0:1], s12, v108, 0
	v_add_co_u32_e64 v70, s[8:9], s16, v107
	v_mad_u64_u32 v[4:5], s[0:1], s15, v72, v[1:2]
	global_load_dwordx2 v[83:84], v107, s[16:17]
	v_mad_u64_u32 v[5:6], s[0:1], s13, v108, v[3:4]
	v_mov_b32_e32 v1, v4
	v_lshlrev_b64 v[0:1], 3, v[0:1]
	v_mov_b32_e32 v6, s11
	v_mov_b32_e32 v3, v5
	v_add_co_u32_e32 v4, vcc, s10, v0
	v_addc_co_u32_e32 v5, vcc, v6, v1, vcc
	v_lshlrev_b64 v[0:1], 3, v[2:3]
	s_mul_i32 s0, s13, 0x268
	s_mul_hi_u32 s1, s12, 0x268
	v_add_co_u32_e32 v0, vcc, v4, v0
	v_mov_b32_e32 v2, s17
	s_add_i32 s1, s1, s0
	s_mul_i32 s0, s12, 0x268
	v_addc_co_u32_e32 v1, vcc, v5, v1, vcc
	v_addc_co_u32_e64 v71, vcc, 0, v2, s[8:9]
	s_lshl_b64 s[6:7], s[0:1], 3
	v_mov_b32_e32 v16, s7
	v_add_co_u32_e32 v2, vcc, s6, v0
	v_addc_co_u32_e32 v3, vcc, v1, v16, vcc
	s_movk_i32 s0, 0x1000
	v_add_co_u32_e32 v8, vcc, s0, v70
	v_addc_co_u32_e32 v9, vcc, 0, v71, vcc
	global_load_dwordx2 v[4:5], v[0:1], off
	global_load_dwordx2 v[6:7], v[2:3], off
	v_add_co_u32_e32 v2, vcc, s6, v2
	v_addc_co_u32_e32 v3, vcc, v3, v16, vcc
	s_movk_i32 s0, 0x2000
	s_mul_hi_u32 s1, s12, 0xfffffc17
	v_add_co_u32_e32 v0, vcc, s0, v70
	s_mul_i32 s0, s13, 0xfffffc17
	s_sub_i32 s1, s1, s12
	s_add_i32 s1, s1, s0
	s_mul_i32 s0, s12, 0xfffffc17
	v_addc_co_u32_e32 v1, vcc, 0, v71, vcc
	s_lshl_b64 s[18:19], s[0:1], 3
	global_load_dwordx2 v[81:82], v[8:9], off offset:832
	global_load_dwordx2 v[10:11], v[2:3], off
	v_mov_b32_e32 v12, s19
	v_add_co_u32_e32 v2, vcc, s18, v2
	v_addc_co_u32_e32 v3, vcc, v3, v12, vcc
	global_load_dwordx2 v[77:78], v[0:1], off offset:1664
	global_load_dwordx2 v[12:13], v[2:3], off
	global_load_dwordx2 v[79:80], v107, s[16:17] offset:1848
	v_add_co_u32_e32 v2, vcc, s6, v2
	v_addc_co_u32_e32 v3, vcc, v3, v16, vcc
	global_load_dwordx2 v[14:15], v[2:3], off
	global_load_dwordx2 v[75:76], v[8:9], off offset:2680
	v_add_co_u32_e32 v2, vcc, s6, v2
	v_addc_co_u32_e32 v3, vcc, v3, v16, vcc
	global_load_dwordx2 v[73:74], v[0:1], off offset:3512
	global_load_dwordx2 v[8:9], v[2:3], off
	s_load_dwordx2 s[10:11], s[4:5], 0x38
	s_load_dwordx4 s[12:15], s[2:3], 0x0
	s_movk_i32 s0, 0x9a
	v_cmp_gt_u16_e64 s[0:1], s0, v108
	s_waitcnt vmcnt(10)
	v_mul_f32_e32 v16, v5, v84
	v_mul_f32_e32 v17, v4, v84
	v_fmac_f32_e32 v16, v4, v83
	v_fma_f32 v17, v5, v83, -v17
	s_waitcnt vmcnt(8)
	v_mul_f32_e32 v4, v7, v82
	v_mul_f32_e32 v5, v6, v82
	v_fmac_f32_e32 v4, v6, v81
	v_fma_f32 v5, v7, v81, -v5
	ds_write_b64 v107, v[4:5] offset:4928
	s_waitcnt vmcnt(6)
	v_mul_f32_e32 v6, v11, v78
	v_mul_f32_e32 v7, v10, v78
	s_waitcnt vmcnt(4)
	v_mul_f32_e32 v4, v13, v80
	v_mul_f32_e32 v5, v12, v80
	v_fmac_f32_e32 v6, v10, v77
	v_fma_f32 v7, v11, v77, -v7
	v_fmac_f32_e32 v4, v12, v79
	v_fma_f32 v5, v13, v79, -v5
	ds_write_b64 v107, v[6:7] offset:9856
	ds_write2_b64 v107, v[16:17], v[4:5] offset1:231
	s_waitcnt vmcnt(2)
	v_mul_f32_e32 v4, v15, v76
	v_mul_f32_e32 v5, v14, v76
	v_fmac_f32_e32 v4, v14, v75
	v_fma_f32 v5, v15, v75, -v5
	ds_write_b64 v107, v[4:5] offset:6776
	s_waitcnt vmcnt(0)
	v_mul_f32_e32 v4, v9, v74
	v_mul_f32_e32 v5, v8, v74
	v_fmac_f32_e32 v4, v8, v73
	v_fma_f32 v5, v9, v73, -v5
	ds_write_b64 v107, v[4:5] offset:11704
	s_and_saveexec_b64 s[2:3], s[0:1]
	s_cbranch_execz .LBB0_3
; %bb.2:
	v_mov_b32_e32 v4, s19
	v_add_co_u32_e32 v2, vcc, s18, v2
	v_addc_co_u32_e32 v3, vcc, v3, v4, vcc
	global_load_dwordx2 v[4:5], v[2:3], off
	v_mov_b32_e32 v12, s7
	v_add_co_u32_e32 v2, vcc, s6, v2
	v_addc_co_u32_e32 v3, vcc, v3, v12, vcc
	global_load_dwordx2 v[6:7], v[2:3], off
	global_load_dwordx2 v[8:9], v[70:71], off offset:3696
	global_load_dwordx2 v[10:11], v[0:1], off offset:432
	v_add_co_u32_e32 v0, vcc, s6, v2
	v_addc_co_u32_e32 v1, vcc, v3, v12, vcc
	v_add_co_u32_e32 v2, vcc, 0x3000, v70
	v_addc_co_u32_e32 v3, vcc, 0, v71, vcc
	global_load_dwordx2 v[12:13], v[2:3], off offset:1264
	global_load_dwordx2 v[14:15], v[0:1], off
	s_waitcnt vmcnt(3)
	v_mul_f32_e32 v0, v5, v9
	v_mul_f32_e32 v1, v4, v9
	v_fmac_f32_e32 v0, v4, v8
	v_fma_f32 v1, v5, v8, -v1
	s_waitcnt vmcnt(2)
	v_mul_f32_e32 v2, v7, v11
	v_mul_f32_e32 v3, v6, v11
	ds_write_b64 v107, v[0:1] offset:3696
	v_fmac_f32_e32 v2, v6, v10
	v_fma_f32 v3, v7, v10, -v3
	ds_write_b64 v107, v[2:3] offset:8624
	s_waitcnt vmcnt(0)
	v_mul_f32_e32 v0, v15, v13
	v_mul_f32_e32 v1, v14, v13
	v_fmac_f32_e32 v0, v14, v12
	v_fma_f32 v1, v15, v12, -v1
	ds_write_b64 v107, v[0:1] offset:13552
.LBB0_3:
	s_or_b64 exec, exec, s[2:3]
	v_add_u32_e32 v0, 0x1300, v107
	v_add_u32_e32 v4, 0x2600, v107
	s_waitcnt lgkmcnt(0)
	s_barrier
	ds_read2_b64 v[24:27], v107 offset1:231
	ds_read2_b64 v[0:3], v0 offset0:8 offset1:239
	ds_read2_b64 v[4:7], v4 offset0:16 offset1:247
                                        ; implicit-def: $vgpr10
                                        ; implicit-def: $vgpr8
                                        ; implicit-def: $vgpr28
	s_and_saveexec_b64 s[2:3], s[0:1]
	s_cbranch_execz .LBB0_5
; %bb.4:
	ds_read_b64 v[28:29], v107 offset:3696
	ds_read_b64 v[8:9], v107 offset:8624
	ds_read_b64 v[10:11], v107 offset:13552
.LBB0_5:
	s_or_b64 exec, exec, s[2:3]
	s_waitcnt lgkmcnt(1)
	v_add_f32_e32 v13, v24, v0
	s_waitcnt lgkmcnt(0)
	v_add_f32_e32 v20, v13, v4
	v_add_f32_e32 v13, v0, v4
	v_fma_f32 v32, -0.5, v13, v24
	v_sub_f32_e32 v13, v1, v5
	v_mov_b32_e32 v22, v32
	v_fmac_f32_e32 v22, 0x3f5db3d7, v13
	v_fmac_f32_e32 v32, 0xbf5db3d7, v13
	v_add_f32_e32 v13, v25, v1
	v_add_f32_e32 v1, v1, v5
	v_fma_f32 v33, -0.5, v1, v25
	v_sub_f32_e32 v0, v0, v4
	v_mov_b32_e32 v23, v33
	v_fmac_f32_e32 v23, 0xbf5db3d7, v0
	v_fmac_f32_e32 v33, 0x3f5db3d7, v0
	v_add_f32_e32 v0, v26, v2
	v_add_f32_e32 v34, v0, v6
	;; [unrolled: 1-line block ×3, first 2 shown]
	v_fma_f32 v26, -0.5, v0, v26
	v_sub_f32_e32 v0, v3, v7
	v_mov_b32_e32 v24, v26
	v_fmac_f32_e32 v24, 0x3f5db3d7, v0
	v_fmac_f32_e32 v26, 0xbf5db3d7, v0
	v_add_f32_e32 v0, v27, v3
	v_add_f32_e32 v35, v0, v7
	;; [unrolled: 1-line block ×3, first 2 shown]
	v_fmac_f32_e32 v27, -0.5, v0
	v_sub_f32_e32 v0, v2, v6
	v_mov_b32_e32 v25, v27
	v_fmac_f32_e32 v25, 0xbf5db3d7, v0
	v_fmac_f32_e32 v27, 0x3f5db3d7, v0
	v_add_f32_e32 v0, v8, v28
	v_add_f32_e32 v36, v10, v0
	;; [unrolled: 1-line block ×3, first 2 shown]
	v_fmac_f32_e32 v28, -0.5, v0
	v_sub_f32_e32 v0, v9, v11
	v_mov_b32_e32 v38, v28
	v_fmac_f32_e32 v38, 0x3f5db3d7, v0
	v_fmac_f32_e32 v28, 0xbf5db3d7, v0
	v_add_f32_e32 v0, v9, v29
	s_load_dwordx2 s[4:5], s[4:5], 0x8
	v_add_f32_e32 v37, v11, v0
	v_add_f32_e32 v0, v11, v9
	v_fmac_f32_e32 v29, -0.5, v0
	v_add_co_u32_e32 v42, vcc, 0xe7, v108
	s_movk_i32 s2, 0x1ce
	v_sub_f32_e32 v0, v8, v10
	v_mov_b32_e32 v39, v29
	v_add_co_u32_e32 v12, vcc, s2, v108
	v_fmac_f32_e32 v39, 0xbf5db3d7, v0
	v_fmac_f32_e32 v29, 0x3f5db3d7, v0
	v_mul_u32_u24_e32 v93, 3, v108
	v_mul_u32_u24_e32 v0, 3, v42
	v_add_f32_e32 v21, v13, v5
	v_lshlrev_b32_e32 v110, 3, v93
	v_lshlrev_b32_e32 v111, 3, v0
	v_mul_u32_u24_e32 v112, 3, v12
	s_waitcnt lgkmcnt(0)
	s_barrier
	ds_write2_b64 v110, v[20:21], v[22:23] offset1:1
	ds_write_b64 v110, v[32:33] offset:16
	ds_write2_b64 v111, v[34:35], v[24:25] offset1:1
	ds_write_b64 v111, v[26:27] offset:16
	s_and_saveexec_b64 s[2:3], s[0:1]
	s_cbranch_execz .LBB0_7
; %bb.6:
	v_lshlrev_b32_e32 v0, 3, v112
	ds_write2_b64 v0, v[36:37], v[38:39] offset1:1
	ds_write_b64 v0, v[28:29] offset:16
.LBB0_7:
	s_or_b64 exec, exec, s[2:3]
	s_movk_i32 s2, 0xa8
	v_cmp_gt_u16_e64 s[2:3], s2, v108
	s_waitcnt lgkmcnt(0)
	s_barrier
	s_waitcnt lgkmcnt(0)
                                        ; implicit-def: $vgpr40
	s_and_saveexec_b64 s[6:7], s[2:3]
	s_cbranch_execz .LBB0_9
; %bb.8:
	v_add_u32_e32 v0, 0x800, v107
	ds_read2_b64 v[32:35], v0 offset0:80 offset1:248
	v_add_u32_e32 v0, 0x1400, v107
	ds_read2_b64 v[24:27], v0 offset0:32 offset1:200
	;; [unrolled: 2-line block ×3, first 2 shown]
	v_add_u32_e32 v0, 0x2800, v107
	ds_read2_b64 v[20:23], v107 offset1:168
	ds_read2_b64 v[28:31], v0 offset0:64 offset1:232
	ds_read_b64 v[40:41], v107 offset:13440
.LBB0_9:
	s_or_b64 exec, exec, s[6:7]
	s_movk_i32 s6, 0xab
	v_mul_lo_u16_sdwa v0, v108, s6 dst_sel:DWORD dst_unused:UNUSED_PAD src0_sel:BYTE_0 src1_sel:DWORD
	v_lshrrev_b16_e32 v113, 9, v0
	v_mul_lo_u16_e32 v0, 3, v113
	v_sub_u16_e32 v0, v108, v0
	v_and_b32_e32 v109, 0xff, v0
	v_mul_u32_u24_e32 v0, 10, v109
	v_lshlrev_b32_e32 v43, 3, v0
	global_load_dwordx4 v[12:15], v43, s[4:5]
	global_load_dwordx4 v[8:11], v43, s[4:5] offset:16
	global_load_dwordx4 v[4:7], v43, s[4:5] offset:32
	;; [unrolled: 1-line block ×4, first 2 shown]
	s_mov_b32 s16, 0x3f575c64
	s_mov_b32 s18, 0x3ed4b147
	;; [unrolled: 1-line block ×5, first 2 shown]
	v_mul_u32_u24_e32 v113, 33, v113
	s_waitcnt vmcnt(0) lgkmcnt(0)
	s_barrier
	v_mul_f32_e32 v44, v23, v13
	v_mul_f32_e32 v43, v22, v13
	;; [unrolled: 1-line block ×11, first 2 shown]
	v_fmac_f32_e32 v52, v33, v14
	v_fma_f32 v33, v22, v12, -v44
	v_fmac_f32_e32 v43, v23, v12
	v_fmac_f32_e32 v58, v29, v2
	v_fma_f32 v29, v40, v18, -v62
	v_fmac_f32_e32 v60, v41, v18
	v_mul_f32_e32 v53, v34, v9
	v_mul_f32_e32 v47, v25, v11
	;; [unrolled: 1-line block ×3, first 2 shown]
	v_fma_f32 v32, v32, v14, -v45
	v_fmac_f32_e32 v54, v25, v10
	v_fma_f32 v25, v28, v2, -v51
	v_fma_f32 v28, v30, v16, -v61
	v_fmac_f32_e32 v59, v31, v16
	v_sub_f32_e32 v65, v33, v29
	v_sub_f32_e32 v89, v43, v60
	v_mul_f32_e32 v46, v35, v9
	v_mul_f32_e32 v55, v26, v5
	v_mul_f32_e32 v49, v37, v7
	v_mul_f32_e32 v57, v38, v1
	v_fmac_f32_e32 v53, v35, v8
	v_fma_f32 v22, v24, v10, -v47
	v_fma_f32 v24, v38, v0, -v50
	v_add_f32_e32 v100, v43, v60
	v_sub_f32_e32 v66, v32, v28
	v_sub_f32_e32 v91, v52, v59
	v_mul_f32_e32 v30, 0xbf0a6770, v89
	v_mul_f32_e32 v38, 0xbf0a6770, v65
	;; [unrolled: 1-line block ×4, first 2 shown]
	v_fmac_f32_e32 v55, v27, v4
	v_fma_f32 v27, v34, v8, -v46
	v_fma_f32 v23, v36, v6, -v49
	v_fmac_f32_e32 v57, v39, v0
	v_add_f32_e32 v61, v33, v29
	v_add_f32_e32 v101, v52, v59
	v_sub_f32_e32 v92, v53, v58
	v_mul_f32_e32 v36, 0xbf68dda4, v66
	v_mul_f32_e32 v34, 0xbf68dda4, v91
	v_fma_f32 v39, v100, s16, -v38
	v_mov_b32_e32 v41, v30
	v_add_f32_e32 v62, v32, v28
	v_sub_f32_e32 v67, v27, v25
	v_sub_f32_e32 v88, v54, v57
	v_mul_f32_e32 v35, 0xbf7d64f0, v92
	v_fma_f32 v40, v101, s18, -v36
	v_mov_b32_e32 v44, v34
	v_add_f32_e32 v39, v21, v39
	v_fmac_f32_e32 v41, 0x3f575c64, v61
	v_fmac_f32_e32 v56, v37, v6
	v_add_f32_e32 v98, v53, v58
	v_add_f32_e32 v63, v27, v25
	v_mul_f32_e32 v37, 0xbf7d64f0, v67
	v_mul_f32_e32 v31, 0xbf4178ce, v88
	v_mov_b32_e32 v46, v35
	v_fmac_f32_e32 v44, 0x3ed4b147, v62
	v_add_f32_e32 v39, v40, v39
	v_add_f32_e32 v40, v20, v41
	;; [unrolled: 1-line block ×3, first 2 shown]
	v_fma_f32 v45, v98, s19, -v37
	v_mov_b32_e32 v47, v31
	v_fmac_f32_e32 v46, 0xbe11bafb, v63
	v_add_f32_e32 v40, v44, v40
	v_sub_f32_e32 v69, v22, v24
	v_fmac_f32_e32 v47, 0xbf27a4f4, v64
	v_add_f32_e32 v41, v45, v39
	v_add_f32_e32 v39, v46, v40
	;; [unrolled: 1-line block ×4, first 2 shown]
	v_mul_f32_e32 v39, 0xbf4178ce, v69
	v_fma_f32 v40, v102, s20, -v39
	v_sub_f32_e32 v115, v55, v56
	v_fma_f32 v26, v26, v4, -v48
	v_add_f32_e32 v45, v40, v41
	v_mul_f32_e32 v40, 0xbe903f40, v115
	v_add_f32_e32 v103, v26, v23
	v_mov_b32_e32 v41, v40
	v_fmac_f32_e32 v41, 0xbf75a155, v103
	v_sub_f32_e32 v106, v26, v23
	v_add_f32_e32 v48, v41, v44
	v_add_f32_e32 v123, v55, v56
	v_mul_f32_e32 v41, 0xbe903f40, v106
	v_fma_f32 v44, v123, s21, -v41
	v_mul_f32_e32 v68, 0xbf68dda4, v89
	v_add_f32_e32 v49, v44, v45
	v_mov_b32_e32 v44, v68
	v_mul_f32_e32 v85, 0xbf4178ce, v91
	v_fmac_f32_e32 v44, 0x3ed4b147, v61
	v_mov_b32_e32 v45, v85
	v_add_f32_e32 v44, v20, v44
	v_fmac_f32_e32 v45, 0xbf27a4f4, v62
	v_mul_f32_e32 v90, 0xbf68dda4, v65
	v_add_f32_e32 v44, v45, v44
	v_fma_f32 v45, v100, s18, -v90
	v_mul_f32_e32 v94, 0xbf4178ce, v66
	v_add_f32_e32 v45, v21, v45
	v_fma_f32 v46, v101, s20, -v94
	v_mul_f32_e32 v86, 0x3e903f40, v92
	v_add_f32_e32 v45, v46, v45
	v_mov_b32_e32 v46, v86
	v_fmac_f32_e32 v46, 0xbf75a155, v63
	v_mul_f32_e32 v96, 0x3e903f40, v67
	v_add_f32_e32 v44, v46, v44
	v_fma_f32 v46, v98, s21, -v96
	v_mul_f32_e32 v87, 0x3f7d64f0, v88
	v_add_f32_e32 v45, v46, v45
	v_mov_b32_e32 v46, v87
	v_fmac_f32_e32 v46, 0xbe11bafb, v64
	;; [unrolled: 7-line block ×3, first 2 shown]
	v_mul_f32_e32 v99, 0x3f0a6770, v106
	v_add_f32_e32 v46, v46, v44
	v_fma_f32 v44, v123, s16, -v99
	v_mul_f32_e32 v104, 0xbf7d64f0, v89
	v_add_f32_e32 v47, v44, v45
	v_mov_b32_e32 v44, v104
	v_mul_f32_e32 v105, 0x3e903f40, v91
	v_fmac_f32_e32 v44, 0xbe11bafb, v61
	v_mov_b32_e32 v45, v105
	v_add_f32_e32 v44, v20, v44
	v_fmac_f32_e32 v45, 0xbf75a155, v62
	v_mul_f32_e32 v117, 0xbf7d64f0, v65
	v_add_f32_e32 v44, v45, v44
	v_fma_f32 v45, v100, s19, -v117
	v_mul_f32_e32 v118, 0x3e903f40, v66
	v_add_f32_e32 v45, v21, v45
	v_fma_f32 v50, v101, s21, -v118
	v_mul_f32_e32 v114, 0x3f68dda4, v92
	v_add_f32_e32 v45, v50, v45
	v_mov_b32_e32 v50, v114
	v_fmac_f32_e32 v50, 0x3ed4b147, v63
	v_mul_f32_e32 v120, 0x3f68dda4, v67
	v_add_f32_e32 v44, v50, v44
	v_fma_f32 v50, v98, s18, -v120
	v_mul_f32_e32 v116, 0xbf0a6770, v88
	v_add_f32_e32 v45, v50, v45
	v_mov_b32_e32 v50, v116
	v_fmac_f32_e32 v50, 0x3f575c64, v64
	;; [unrolled: 7-line block ×3, first 2 shown]
	v_mul_f32_e32 v122, 0xbf4178ce, v106
	v_add_f32_e32 v50, v50, v44
	v_fma_f32 v44, v123, s20, -v122
	v_mul_f32_e32 v124, 0xbf4178ce, v89
	v_add_f32_e32 v51, v44, v45
	v_mov_b32_e32 v44, v124
	v_mul_f32_e32 v125, 0x3f7d64f0, v91
	v_fmac_f32_e32 v44, 0xbf27a4f4, v61
	v_mov_b32_e32 v45, v125
	v_add_f32_e32 v44, v20, v44
	v_fmac_f32_e32 v45, 0xbe11bafb, v62
	v_mul_f32_e32 v128, 0xbf4178ce, v65
	v_add_f32_e32 v44, v45, v44
	v_fma_f32 v45, v100, s20, -v128
	v_mul_f32_e32 v129, 0x3f7d64f0, v66
	v_add_f32_e32 v45, v21, v45
	v_fma_f32 v126, v101, s19, -v129
	v_add_f32_e32 v45, v126, v45
	v_mul_f32_e32 v126, 0xbf0a6770, v92
	v_mov_b32_e32 v127, v126
	v_fmac_f32_e32 v127, 0x3f575c64, v63
	v_mul_f32_e32 v131, 0xbf0a6770, v67
	v_add_f32_e32 v44, v127, v44
	v_fma_f32 v127, v98, s16, -v131
	v_add_f32_e32 v45, v127, v45
	v_mul_f32_e32 v127, 0xbe903f40, v88
	v_mov_b32_e32 v130, v127
	v_fmac_f32_e32 v130, 0xbf75a155, v64
	;; [unrolled: 7-line block ×3, first 2 shown]
	v_add_f32_e32 v44, v133, v44
	v_mul_f32_e32 v133, 0x3f68dda4, v106
	v_fma_f32 v134, v123, s18, -v133
	v_add_f32_e32 v45, v134, v45
	s_and_saveexec_b64 s[6:7], s[2:3]
	s_cbranch_execz .LBB0_11
; %bb.10:
	v_mul_f32_e32 v174, 0xbf75a155, v100
	v_mul_f32_e32 v135, 0x3f575c64, v100
	;; [unrolled: 1-line block ×5, first 2 shown]
	v_mov_b32_e32 v100, v174
	v_mul_f32_e32 v175, 0x3f575c64, v101
	v_mul_f32_e32 v143, 0x3ed4b147, v101
	;; [unrolled: 1-line block ×5, first 2 shown]
	v_fmac_f32_e32 v100, 0x3e903f40, v65
	v_mov_b32_e32 v101, v175
	v_mul_f32_e32 v151, 0xbe11bafb, v98
	v_mul_f32_e32 v153, 0xbf75a155, v98
	;; [unrolled: 1-line block ×4, first 2 shown]
	v_add_f32_e32 v100, v21, v100
	v_fmac_f32_e32 v101, 0xbf0a6770, v66
	v_mul_f32_e32 v98, 0xbf27a4f4, v98
	v_add_f32_e32 v100, v101, v100
	v_mov_b32_e32 v101, v98
	v_mul_f32_e32 v159, 0xbf27a4f4, v102
	v_mul_f32_e32 v161, 0xbe11bafb, v102
	;; [unrolled: 1-line block ×4, first 2 shown]
	v_fmac_f32_e32 v101, 0x3f4178ce, v67
	v_mul_f32_e32 v102, 0x3ed4b147, v102
	v_add_f32_e32 v100, v101, v100
	v_mov_b32_e32 v101, v102
	v_mul_f32_e32 v167, 0xbf75a155, v123
	v_mul_f32_e32 v169, 0x3f575c64, v123
	;; [unrolled: 1-line block ×4, first 2 shown]
	v_fmac_f32_e32 v101, 0xbf68dda4, v69
	v_mul_f32_e32 v123, 0xbe11bafb, v123
	v_add_f32_e32 v100, v101, v100
	v_mov_b32_e32 v101, v123
	v_fmac_f32_e32 v101, 0x3f7d64f0, v106
	v_mul_f32_e32 v89, 0xbe903f40, v89
	v_add_f32_e32 v101, v101, v100
	v_mov_b32_e32 v100, v89
	v_mul_f32_e32 v91, 0x3f0a6770, v91
	v_mul_f32_e32 v134, 0x3f575c64, v61
	;; [unrolled: 1-line block ×5, first 2 shown]
	v_fmac_f32_e32 v100, 0xbf75a155, v61
	v_mov_b32_e32 v176, v91
	v_fma_f32 v61, v61, s21, -v89
	v_mul_f32_e32 v142, 0x3ed4b147, v62
	v_mul_f32_e32 v144, 0xbf27a4f4, v62
	;; [unrolled: 1-line block ×4, first 2 shown]
	v_add_f32_e32 v100, v20, v100
	v_fmac_f32_e32 v176, 0x3f575c64, v62
	v_mul_f32_e32 v92, 0xbf4178ce, v92
	v_add_f32_e32 v61, v20, v61
	v_fma_f32 v62, v62, s16, -v91
	v_add_f32_e32 v100, v176, v100
	v_mov_b32_e32 v176, v92
	v_mul_f32_e32 v88, 0x3f68dda4, v88
	v_add_f32_e32 v61, v62, v61
	v_fma_f32 v62, v63, s20, -v92
	v_fmac_f32_e32 v176, 0xbf27a4f4, v63
	v_mul_f32_e32 v115, 0xbf7d64f0, v115
	v_add_f32_e32 v61, v62, v61
	v_fma_f32 v62, v64, s18, -v88
	v_add_f32_e32 v100, v176, v100
	v_mov_b32_e32 v176, v88
	v_add_f32_e32 v61, v62, v61
	v_fma_f32 v62, v103, s19, -v115
	v_mul_f32_e32 v158, 0xbf27a4f4, v64
	v_mul_f32_e32 v160, 0xbe11bafb, v64
	;; [unrolled: 1-line block ×4, first 2 shown]
	v_fmac_f32_e32 v176, 0x3ed4b147, v64
	v_add_f32_e32 v64, v62, v61
	v_add_f32_e32 v61, v128, v141
	;; [unrolled: 1-line block ×11, first 2 shown]
	v_sub_f32_e32 v61, v140, v124
	v_mul_f32_e32 v150, 0xbe11bafb, v63
	v_mul_f32_e32 v152, 0xbf75a155, v63
	;; [unrolled: 1-line block ×4, first 2 shown]
	v_add_f32_e32 v61, v20, v61
	v_sub_f32_e32 v63, v148, v125
	v_add_f32_e32 v61, v63, v61
	v_sub_f32_e32 v63, v156, v126
	v_mul_f32_e32 v172, 0x3ed4b147, v103
	v_add_f32_e32 v61, v63, v61
	v_sub_f32_e32 v63, v164, v127
	v_add_f32_e32 v61, v63, v61
	v_sub_f32_e32 v63, v172, v130
	v_add_f32_e32 v61, v63, v61
	v_add_f32_e32 v63, v117, v139
	v_fmac_f32_e32 v175, 0x3f0a6770, v66
	v_add_f32_e32 v63, v21, v63
	v_add_f32_e32 v66, v118, v147
	;; [unrolled: 1-line block ×8, first 2 shown]
	v_fmac_f32_e32 v98, 0xbf4178ce, v67
	v_add_f32_e32 v67, v66, v63
	v_sub_f32_e32 v63, v138, v104
	v_add_f32_e32 v63, v20, v63
	v_sub_f32_e32 v66, v146, v105
	v_add_f32_e32 v63, v66, v63
	v_sub_f32_e32 v66, v154, v114
	v_mul_f32_e32 v170, 0xbf27a4f4, v103
	v_add_f32_e32 v63, v66, v63
	v_sub_f32_e32 v66, v162, v116
	v_add_f32_e32 v63, v66, v63
	v_sub_f32_e32 v66, v170, v119
	v_add_f32_e32 v66, v66, v63
	v_add_f32_e32 v63, v90, v137
	v_fmac_f32_e32 v102, 0x3f68dda4, v69
	v_add_f32_e32 v63, v21, v63
	v_add_f32_e32 v69, v94, v145
	;; [unrolled: 1-line block ×8, first 2 shown]
	v_fmac_f32_e32 v174, 0xbe903f40, v65
	v_add_f32_e32 v69, v69, v63
	v_sub_f32_e32 v63, v136, v68
	v_add_f32_e32 v38, v38, v135
	v_sub_f32_e32 v30, v134, v30
	v_add_f32_e32 v65, v21, v174
	v_add_f32_e32 v63, v20, v63
	v_add_f32_e32 v38, v21, v38
	v_add_f32_e32 v30, v20, v30
	v_add_f32_e32 v21, v21, v43
	v_add_f32_e32 v20, v20, v33
	v_add_f32_e32 v21, v21, v52
	v_add_f32_e32 v20, v20, v32
	v_add_f32_e32 v21, v21, v53
	v_add_f32_e32 v20, v20, v27
	v_add_f32_e32 v21, v21, v54
	v_add_f32_e32 v20, v20, v22
	v_add_f32_e32 v21, v21, v55
	v_add_f32_e32 v20, v20, v26
	v_add_f32_e32 v36, v36, v143
	v_sub_f32_e32 v34, v142, v34
	v_add_f32_e32 v21, v21, v56
	v_add_f32_e32 v20, v20, v23
	v_sub_f32_e32 v68, v144, v85
	v_add_f32_e32 v36, v36, v38
	v_add_f32_e32 v37, v37, v151
	;; [unrolled: 1-line block ×3, first 2 shown]
	v_sub_f32_e32 v34, v150, v35
	v_add_f32_e32 v21, v21, v57
	v_add_f32_e32 v20, v20, v24
	v_mul_f32_e32 v166, 0xbf75a155, v103
	v_add_f32_e32 v65, v175, v65
	v_add_f32_e32 v63, v68, v63
	v_sub_f32_e32 v68, v152, v86
	v_add_f32_e32 v36, v37, v36
	v_add_f32_e32 v37, v39, v159
	;; [unrolled: 1-line block ×3, first 2 shown]
	v_sub_f32_e32 v31, v158, v31
	v_add_f32_e32 v21, v21, v58
	v_add_f32_e32 v20, v20, v25
	v_mul_f32_e32 v168, 0x3f575c64, v103
	v_add_f32_e32 v100, v176, v100
	v_mov_b32_e32 v176, v115
	v_add_f32_e32 v65, v98, v65
	v_add_f32_e32 v63, v68, v63
	v_sub_f32_e32 v68, v160, v87
	v_add_f32_e32 v36, v37, v36
	v_add_f32_e32 v37, v41, v167
	;; [unrolled: 1-line block ×3, first 2 shown]
	v_sub_f32_e32 v31, v166, v40
	v_add_f32_e32 v21, v21, v59
	v_add_f32_e32 v20, v20, v28
	v_fmac_f32_e32 v176, 0xbe11bafb, v103
	v_add_f32_e32 v65, v102, v65
	v_fmac_f32_e32 v123, 0xbf7d64f0, v106
	v_add_f32_e32 v63, v68, v63
	v_sub_f32_e32 v68, v168, v95
	v_add_f32_e32 v36, v37, v36
	v_add_f32_e32 v35, v31, v30
	;; [unrolled: 1-line block ×4, first 2 shown]
	v_add_lshl_u32 v22, v113, v109, 3
	v_add_f32_e32 v100, v176, v100
	v_add_f32_e32 v65, v123, v65
	;; [unrolled: 1-line block ×3, first 2 shown]
	ds_write2_b64 v22, v[20:21], v[35:36] offset1:3
	ds_write2_b64 v22, v[68:69], v[66:67] offset0:6 offset1:9
	ds_write2_b64 v22, v[61:62], v[64:65] offset0:12 offset1:15
	;; [unrolled: 1-line block ×4, first 2 shown]
	ds_write_b64 v22, v[48:49] offset:240
.LBB0_11:
	s_or_b64 exec, exec, s[6:7]
	s_waitcnt lgkmcnt(0)
	s_barrier
	ds_read_b64 v[52:53], v107
	ds_read_b64 v[64:65], v107 offset:2112
	ds_read_b64 v[62:63], v107 offset:4224
	;; [unrolled: 1-line block ×6, first 2 shown]
	v_cmp_gt_u16_e64 s[6:7], 33, v108
                                        ; implicit-def: $vgpr66
                                        ; implicit-def: $vgpr68
                                        ; implicit-def: $vgpr85
	s_and_saveexec_b64 s[18:19], s[6:7]
	s_cbranch_execz .LBB0_13
; %bb.12:
	ds_read_b64 v[44:45], v107 offset:1848
	ds_read_b64 v[50:51], v107 offset:3960
	ds_read_b64 v[46:47], v107 offset:6072
	ds_read_b64 v[48:49], v107 offset:8184
	ds_read_b64 v[85:86], v107 offset:10296
	ds_read_b64 v[66:67], v107 offset:12408
	ds_read_b64 v[68:69], v107 offset:14520
.LBB0_13:
	s_or_b64 exec, exec, s[18:19]
	s_mov_b32 s16, 0xf83f
	v_mul_u32_u24_sdwa v20, v42, s16 dst_sel:DWORD dst_unused:UNUSED_PAD src0_sel:WORD_0 src1_sel:DWORD
	s_movk_i32 s16, 0xf9
	v_mul_lo_u16_sdwa v28, v108, s16 dst_sel:DWORD dst_unused:UNUSED_PAD src0_sel:BYTE_0 src1_sel:DWORD
	v_lshrrev_b32_e32 v20, 21, v20
	v_lshrrev_b16_e32 v95, 13, v28
	v_mul_lo_u16_e32 v20, 33, v20
	v_mul_lo_u16_e32 v28, 33, v95
	v_sub_u16_e32 v94, v42, v20
	v_sub_u16_e32 v28, v108, v28
	v_mul_lo_u16_e32 v20, 48, v94
	v_and_b32_e32 v96, 0xff, v28
	v_mov_b32_e32 v21, s5
	v_add_co_u32_e32 v87, vcc, s4, v20
	v_mad_u64_u32 v[89:90], s[18:19], v96, 48, s[4:5]
	v_addc_co_u32_e32 v88, vcc, 0, v21, vcc
	global_load_dwordx4 v[24:27], v[87:88], off offset:256
	global_load_dwordx4 v[20:23], v[87:88], off offset:272
	;; [unrolled: 1-line block ×6, first 2 shown]
	s_mov_b32 s16, 0x3f5ff5aa
	s_mov_b32 s18, 0x3f3bfb3b
	;; [unrolled: 1-line block ×4, first 2 shown]
	v_lshlrev_b32_e32 v114, 3, v94
	s_waitcnt vmcnt(0) lgkmcnt(0)
	s_barrier
	v_mul_f32_e32 v87, v49, v25
	v_mul_f32_e32 v92, v66, v21
	;; [unrolled: 1-line block ×7, first 2 shown]
	v_fma_f32 v87, v48, v24, -v87
	v_fmac_f32_e32 v92, v67, v20
	v_fma_f32 v67, v68, v22, -v97
	v_mul_f32_e32 v48, v65, v41
	v_mul_f32_e32 v68, v63, v43
	;; [unrolled: 1-line block ×5, first 2 shown]
	v_fmac_f32_e32 v88, v49, v24
	v_fmac_f32_e32 v90, v86, v26
	v_fma_f32 v66, v66, v20, -v91
	v_fmac_f32_e32 v98, v69, v22
	v_mul_f32_e32 v49, v64, v41
	v_mul_f32_e32 v69, v62, v43
	;; [unrolled: 1-line block ×8, first 2 shown]
	v_fma_f32 v48, v64, v40, -v48
	v_fma_f32 v62, v62, v42, -v68
	;; [unrolled: 1-line block ×5, first 2 shown]
	v_mul_f32_e32 v89, v60, v37
	v_mul_f32_e32 v97, v58, v39
	;; [unrolled: 1-line block ×4, first 2 shown]
	v_fmac_f32_e32 v49, v65, v40
	v_fmac_f32_e32 v69, v63, v42
	v_fma_f32 v60, v60, v36, -v86
	v_fma_f32 v58, v58, v38, -v91
	v_fmac_f32_e32 v100, v57, v32
	v_fmac_f32_e32 v102, v55, v34
	;; [unrolled: 1-line block ×3, first 2 shown]
	v_fma_f32 v51, v46, v30, -v105
	v_add_f32_e32 v46, v48, v54
	v_sub_f32_e32 v48, v48, v54
	v_add_f32_e32 v54, v62, v56
	v_fmac_f32_e32 v89, v61, v36
	v_fmac_f32_e32 v97, v59, v38
	;; [unrolled: 1-line block ×3, first 2 shown]
	v_add_f32_e32 v47, v49, v102
	v_add_f32_e32 v55, v69, v100
	v_sub_f32_e32 v56, v62, v56
	v_add_f32_e32 v59, v60, v58
	v_sub_f32_e32 v58, v58, v60
	;; [unrolled: 2-line block ×5, first 2 shown]
	v_sub_f32_e32 v68, v46, v59
	v_sub_f32_e32 v54, v59, v54
	v_add_f32_e32 v46, v58, v56
	v_add_f32_e32 v59, v59, v62
	v_sub_f32_e32 v49, v49, v102
	v_sub_f32_e32 v65, v55, v47
	;; [unrolled: 1-line block ×4, first 2 shown]
	v_add_f32_e32 v47, v60, v57
	v_sub_f32_e32 v86, v58, v56
	v_sub_f32_e32 v58, v48, v58
	;; [unrolled: 1-line block ×3, first 2 shown]
	v_add_f32_e32 v61, v61, v63
	v_add_f32_e32 v48, v46, v48
	;; [unrolled: 1-line block ×3, first 2 shown]
	v_sub_f32_e32 v89, v60, v57
	v_sub_f32_e32 v60, v49, v60
	;; [unrolled: 1-line block ×3, first 2 shown]
	v_add_f32_e32 v49, v47, v49
	v_add_f32_e32 v47, v53, v61
	v_mov_b32_e32 v91, v46
	v_mul_f32_e32 v52, 0x3f4a47b2, v68
	v_mul_f32_e32 v53, 0x3f4a47b2, v69
	;; [unrolled: 1-line block ×8, first 2 shown]
	v_fmac_f32_e32 v91, 0xbf955555, v59
	v_mov_b32_e32 v59, v47
	v_fmac_f32_e32 v59, 0xbf955555, v61
	v_fma_f32 v61, v64, s18, -v62
	v_fma_f32 v62, v65, s18, -v63
	;; [unrolled: 1-line block ×3, first 2 shown]
	v_fmac_f32_e32 v52, 0x3d64c772, v54
	v_fma_f32 v54, v65, s19, -v53
	v_fmac_f32_e32 v53, 0x3d64c772, v55
	v_fma_f32 v64, v56, s16, -v68
	v_fmac_f32_e32 v68, 0x3eae86e6, v58
	v_fma_f32 v65, v58, s20, -v86
	v_fma_f32 v58, v60, s20, -v89
	v_fma_f32 v50, v50, v28, -v103
	;; [unrolled: 1-line block ×3, first 2 shown]
	v_add_f32_e32 v86, v53, v59
	v_add_f32_e32 v57, v61, v91
	;; [unrolled: 1-line block ×5, first 2 shown]
	v_fmac_f32_e32 v65, 0x3ee1c552, v48
	v_fmac_f32_e32 v58, 0x3ee1c552, v49
	v_fmac_f32_e32 v69, 0x3eae86e6, v60
	v_add_f32_e32 v60, v52, v91
	v_fmac_f32_e32 v68, 0x3ee1c552, v48
	v_fmac_f32_e32 v64, 0x3ee1c552, v48
	;; [unrolled: 1-line block ×3, first 2 shown]
	v_add_f32_e32 v52, v58, v62
	v_sub_f32_e32 v53, v59, v65
	v_sub_f32_e32 v58, v62, v58
	v_add_f32_e32 v59, v65, v59
	v_add_f32_e32 v62, v50, v67
	v_add_f32_e32 v65, v51, v66
	v_fmac_f32_e32 v69, 0x3ee1c552, v49
	v_sub_f32_e32 v49, v86, v68
	v_sub_f32_e32 v54, v57, v56
	v_add_f32_e32 v55, v64, v61
	v_add_f32_e32 v56, v56, v57
	v_sub_f32_e32 v57, v61, v64
	v_add_f32_e32 v61, v68, v86
	v_add_f32_e32 v63, v104, v98
	;; [unrolled: 3-line block ×4, first 2 shown]
	v_sub_f32_e32 v60, v60, v69
	v_add_f32_e32 v69, v88, v90
	v_sub_f32_e32 v86, v90, v88
	v_add_f32_e32 v88, v67, v63
	v_sub_f32_e32 v89, v65, v62
	v_sub_f32_e32 v62, v62, v68
	;; [unrolled: 1-line block ×3, first 2 shown]
	v_add_f32_e32 v68, v68, v87
	v_sub_f32_e32 v51, v51, v66
	v_sub_f32_e32 v66, v106, v92
	v_sub_f32_e32 v90, v67, v63
	v_sub_f32_e32 v63, v63, v69
	v_sub_f32_e32 v67, v69, v67
	v_add_f32_e32 v69, v69, v88
	v_add_f32_e32 v44, v44, v68
	v_sub_f32_e32 v64, v104, v98
	v_add_f32_e32 v91, v85, v51
	v_sub_f32_e32 v98, v86, v66
	v_add_f32_e32 v45, v45, v69
	v_mov_b32_e32 v99, v44
	v_add_f32_e32 v92, v86, v66
	v_sub_f32_e32 v97, v85, v51
	v_sub_f32_e32 v85, v50, v85
	;; [unrolled: 1-line block ×5, first 2 shown]
	v_add_f32_e32 v50, v91, v50
	v_mul_f32_e32 v62, 0x3f4a47b2, v62
	v_mul_f32_e32 v87, 0x3d64c772, v65
	;; [unrolled: 1-line block ×4, first 2 shown]
	v_fmac_f32_e32 v99, 0xbf955555, v68
	v_mov_b32_e32 v68, v45
	v_add_f32_e32 v64, v92, v64
	v_mul_f32_e32 v63, 0x3f4a47b2, v63
	v_mul_f32_e32 v92, 0xbf08b237, v97
	;; [unrolled: 1-line block ×4, first 2 shown]
	v_fmac_f32_e32 v68, 0xbf955555, v69
	v_fma_f32 v69, v89, s18, -v87
	v_fma_f32 v87, v90, s18, -v88
	;; [unrolled: 1-line block ×3, first 2 shown]
	v_fmac_f32_e32 v62, 0x3d64c772, v65
	v_fma_f32 v66, v66, s16, -v91
	v_fmac_f32_e32 v91, 0x3eae86e6, v86
	v_fma_f32 v65, v90, s19, -v63
	;; [unrolled: 2-line block ×4, first 2 shown]
	v_fma_f32 v86, v86, s20, -v98
	v_add_f32_e32 v62, v62, v99
	v_fmac_f32_e32 v91, 0x3ee1c552, v64
	v_add_f32_e32 v63, v63, v68
	v_add_f32_e32 v69, v69, v99
	;; [unrolled: 1-line block ×5, first 2 shown]
	v_fmac_f32_e32 v92, 0x3ee1c552, v50
	v_fmac_f32_e32 v67, 0x3ee1c552, v50
	;; [unrolled: 1-line block ×5, first 2 shown]
	v_add_f32_e32 v103, v91, v62
	v_sub_f32_e32 v91, v62, v91
	v_mul_u32_u24_e32 v62, 0xe7, v95
	v_sub_f32_e32 v104, v63, v92
	v_add_f32_e32 v50, v86, v88
	v_sub_f32_e32 v51, v65, v85
	v_sub_f32_e32 v101, v69, v66
	v_add_f32_e32 v102, v67, v87
	v_add_f32_e32 v89, v66, v69
	v_sub_f32_e32 v90, v87, v67
	v_sub_f32_e32 v87, v88, v86
	v_add_f32_e32 v88, v85, v65
	v_add_f32_e32 v92, v92, v63
	v_add_lshl_u32 v115, v62, v96, 3
	ds_write2_b64 v115, v[46:47], v[48:49] offset1:33
	ds_write2_b64 v115, v[52:53], v[54:55] offset0:66 offset1:99
	ds_write2_b64 v115, v[56:57], v[58:59] offset0:132 offset1:165
	ds_write_b64 v115, v[60:61] offset:1584
	s_and_saveexec_b64 s[18:19], s[6:7]
	s_cbranch_execz .LBB0_15
; %bb.14:
	v_add_u32_e32 v46, 0x3000, v114
	ds_write2_b64 v46, v[44:45], v[103:104] offset0:81 offset1:114
	ds_write2_b64 v46, v[50:51], v[101:102] offset0:147 offset1:180
	;; [unrolled: 1-line block ×3, first 2 shown]
	ds_write_b64 v114, v[91:92] offset:14520
.LBB0_15:
	s_or_b64 exec, exec, s[18:19]
	v_lshlrev_b32_e32 v48, 3, v93
	s_waitcnt lgkmcnt(0)
	s_barrier
	global_load_dwordx4 v[44:47], v48, s[4:5] offset:1824
	global_load_dwordx2 v[85:86], v48, s[4:5] offset:1840
	v_add_u32_e32 v120, 0xe00, v107
	ds_read2_b64 v[52:55], v107 offset1:231
	v_add_u32_e32 v68, 0x1c80, v107
	v_add_u32_e32 v69, 0x2b00, v107
	ds_read2_b64 v[56:59], v120 offset0:14 offset1:245
	ds_read2_b64 v[60:63], v68 offset0:12 offset1:243
	;; [unrolled: 1-line block ×3, first 2 shown]
	v_mov_b32_e32 v49, s5
	v_add_co_u32_e32 v94, vcc, s4, v48
	v_addc_co_u32_e32 v95, vcc, 0, v49, vcc
	v_lshlrev_b32_e32 v93, 4, v108
	s_waitcnt vmcnt(0) lgkmcnt(0)
	s_barrier
	s_movk_i32 s4, 0x1000
	s_movk_i32 s16, 0x2000
	;; [unrolled: 1-line block ×4, first 2 shown]
	v_add_u32_e32 v121, 0x2400, v107
	v_mul_f32_e32 v48, v57, v45
	v_mul_f32_e32 v49, v56, v45
	v_mul_f32_e32 v96, v61, v47
	v_mul_f32_e32 v97, v60, v47
	v_mul_f32_e32 v98, v65, v86
	v_mul_f32_e32 v99, v64, v86
	v_mul_f32_e32 v100, v59, v45
	v_mul_f32_e32 v105, v58, v45
	v_mul_f32_e32 v106, v63, v47
	v_mul_f32_e32 v116, v62, v47
	v_mul_f32_e32 v117, v67, v86
	v_mul_f32_e32 v118, v66, v86
	v_fma_f32 v48, v56, v44, -v48
	v_fmac_f32_e32 v49, v57, v44
	v_fma_f32 v56, v60, v46, -v96
	v_fmac_f32_e32 v97, v61, v46
	;; [unrolled: 2-line block ×6, first 2 shown]
	v_sub_f32_e32 v56, v52, v56
	v_sub_f32_e32 v61, v53, v97
	;; [unrolled: 1-line block ×8, first 2 shown]
	v_fma_f32 v65, v52, 2.0, -v56
	v_fma_f32 v66, v53, 2.0, -v61
	v_fma_f32 v67, v48, 2.0, -v57
	v_fma_f32 v96, v49, 2.0, -v62
	v_sub_f32_e32 v48, v56, v62
	v_add_f32_e32 v49, v61, v57
	v_fma_f32 v97, v54, 2.0, -v63
	v_fma_f32 v98, v55, 2.0, -v64
	;; [unrolled: 1-line block ×4, first 2 shown]
	v_sub_f32_e32 v52, v63, v60
	v_sub_f32_e32 v54, v65, v67
	;; [unrolled: 1-line block ×3, first 2 shown]
	v_add_f32_e32 v53, v64, v59
	v_fma_f32 v56, v56, 2.0, -v48
	v_fma_f32 v57, v61, 2.0, -v49
	v_sub_f32_e32 v58, v97, v58
	v_sub_f32_e32 v59, v98, v62
	v_fma_f32 v60, v63, 2.0, -v52
	v_fma_f32 v62, v65, 2.0, -v54
	;; [unrolled: 1-line block ×6, first 2 shown]
	ds_write2_b64 v107, v[62:63], v[56:57] offset1:231
	ds_write2_b64 v120, v[54:55], v[48:49] offset0:14 offset1:245
	ds_write2_b64 v68, v[64:65], v[60:61] offset0:12 offset1:243
	ds_write2_b64 v69, v[58:59], v[52:53] offset0:10 offset1:241
	v_sub_co_u32_e32 v54, vcc, v94, v93
	v_subbrev_co_u32_e32 v55, vcc, 0, v95, vcc
	v_add_co_u32_e32 v48, vcc, s4, v54
	v_addc_co_u32_e32 v49, vcc, 0, v55, vcc
	v_add_co_u32_e32 v52, vcc, s16, v54
	v_addc_co_u32_e32 v53, vcc, 0, v55, vcc
	s_movk_i32 s4, 0x3000
	s_waitcnt lgkmcnt(0)
	s_barrier
	global_load_dwordx2 v[97:98], v[48:49], off offset:3272
	global_load_dwordx2 v[93:94], v[52:53], off offset:1024
	;; [unrolled: 1-line block ×3, first 2 shown]
	v_add_co_u32_e32 v48, vcc, s4, v54
	v_addc_co_u32_e32 v49, vcc, 0, v55, vcc
	global_load_dwordx2 v[99:100], v[48:49], off offset:624
	v_mov_b32_e32 v48, s17
	ds_read2_b64 v[54:57], v68 offset0:12 offset1:243
	ds_read2_b64 v[58:61], v107 offset1:231
	ds_read2_b64 v[62:65], v120 offset0:14 offset1:245
	ds_read2_b64 v[66:69], v69 offset0:10 offset1:241
	v_addc_co_u32_e64 v124, vcc, 0, v48, s[8:9]
	v_add_co_u32_e32 v52, vcc, s5, v70
	v_addc_co_u32_e32 v53, vcc, 0, v124, vcc
	v_add_co_u32_e32 v116, vcc, s4, v70
	s_movk_i32 s17, 0x4000
	v_addc_co_u32_e32 v117, vcc, 0, v124, vcc
	v_add_co_u32_e32 v118, vcc, s17, v70
	v_addc_co_u32_e32 v119, vcc, 0, v124, vcc
	s_movk_i32 s4, 0x5000
	s_waitcnt vmcnt(3) lgkmcnt(3)
	v_mul_f32_e32 v48, v55, v98
	v_mul_f32_e32 v49, v54, v98
	s_waitcnt vmcnt(2)
	v_mul_f32_e32 v105, v57, v94
	v_mul_f32_e32 v106, v56, v94
	s_waitcnt vmcnt(1) lgkmcnt(0)
	v_mul_f32_e32 v122, v67, v96
	v_mul_f32_e32 v123, v66, v96
	v_fma_f32 v48, v54, v97, -v48
	s_waitcnt vmcnt(0)
	v_mul_f32_e32 v125, v69, v100
	v_mul_f32_e32 v126, v68, v100
	v_fmac_f32_e32 v49, v55, v97
	v_fma_f32 v56, v56, v93, -v105
	v_fmac_f32_e32 v106, v57, v93
	v_fma_f32 v66, v66, v95, -v122
	;; [unrolled: 2-line block ×3, first 2 shown]
	v_fmac_f32_e32 v126, v69, v99
	v_sub_f32_e32 v54, v58, v48
	v_sub_f32_e32 v55, v59, v49
	;; [unrolled: 1-line block ×8, first 2 shown]
	v_fma_f32 v58, v58, 2.0, -v54
	v_fma_f32 v59, v59, 2.0, -v55
	;; [unrolled: 1-line block ×8, first 2 shown]
	ds_write_b64 v107, v[54:55] offset:7392
	ds_write2_b64 v107, v[58:59], v[60:61] offset1:231
	ds_write2_b64 v121, v[56:57], v[66:67] offset0:3 offset1:234
	ds_write2_b64 v120, v[62:63], v[48:49] offset0:14 offset1:245
	ds_write_b64 v107, v[105:106] offset:12936
	v_add_co_u32_e32 v54, vcc, s18, v70
	s_waitcnt lgkmcnt(0)
	s_barrier
	v_addc_co_u32_e32 v55, vcc, 0, v124, vcc
	global_load_dwordx2 v[60:61], v[116:117], off offset:2496
	global_load_dwordx2 v[68:69], v[118:119], off offset:3328
	;; [unrolled: 1-line block ×4, first 2 shown]
	v_add_co_u32_e32 v56, vcc, s4, v70
	v_addc_co_u32_e32 v57, vcc, 0, v124, vcc
	global_load_dwordx2 v[116:117], v[56:57], off offset:1080
	global_load_dwordx2 v[118:119], v[54:55], off offset:1912
	ds_read2_b64 v[56:59], v107 offset1:231
	v_add_u32_e32 v55, 0x1300, v107
	v_add_u32_e32 v54, 0x2600, v107
	s_waitcnt vmcnt(5) lgkmcnt(0)
	v_mul_f32_e32 v63, v57, v61
	v_mul_f32_e32 v62, v56, v61
	v_fma_f32 v61, v56, v60, -v63
	v_fmac_f32_e32 v62, v57, v60
	s_waitcnt vmcnt(2)
	v_mul_f32_e32 v64, v59, v123
	ds_write_b64 v107, v[61:62]
	v_mul_f32_e32 v124, v58, v123
	ds_read2_b64 v[60:63], v55 offset0:8 offset1:239
	v_fma_f32 v123, v58, v122, -v64
	ds_read2_b64 v[64:67], v54 offset0:16 offset1:247
	v_fmac_f32_e32 v124, v59, v122
	ds_write_b64 v107, v[123:124] offset:1848
	s_waitcnt lgkmcnt(2)
	v_mul_f32_e32 v56, v61, v69
	v_mul_f32_e32 v57, v60, v69
	s_waitcnt lgkmcnt(1)
	v_mul_f32_e32 v58, v65, v121
	v_mul_f32_e32 v59, v64, v121
	s_waitcnt vmcnt(1)
	v_mul_f32_e32 v121, v63, v117
	v_mul_f32_e32 v69, v62, v117
	s_waitcnt vmcnt(0)
	v_mul_f32_e32 v122, v67, v119
	v_mul_f32_e32 v117, v66, v119
	v_fma_f32 v56, v60, v68, -v56
	v_fmac_f32_e32 v57, v61, v68
	v_fma_f32 v68, v62, v116, -v121
	v_fmac_f32_e32 v69, v63, v116
	;; [unrolled: 2-line block ×4, first 2 shown]
	ds_write2_b64 v55, v[56:57], v[68:69] offset0:8 offset1:239
	ds_write2_b64 v54, v[58:59], v[116:117] offset0:16 offset1:247
	s_and_saveexec_b64 s[4:5], s[0:1]
	s_cbranch_execz .LBB0_17
; %bb.16:
	v_add_co_u32_e32 v58, vcc, s16, v52
	v_addc_co_u32_e32 v59, vcc, 0, v53, vcc
	global_load_dwordx2 v[56:57], v[52:53], off offset:3696
	v_add_co_u32_e32 v52, vcc, 0x3000, v52
	global_load_dwordx2 v[58:59], v[58:59], off offset:432
	v_addc_co_u32_e32 v53, vcc, 0, v53, vcc
	global_load_dwordx2 v[52:53], v[52:53], off offset:1264
	ds_read_b64 v[60:61], v107 offset:3696
	ds_read_b64 v[62:63], v107 offset:8624
	;; [unrolled: 1-line block ×3, first 2 shown]
	s_waitcnt vmcnt(2) lgkmcnt(2)
	v_mul_f32_e32 v66, v61, v57
	v_mul_f32_e32 v67, v60, v57
	v_fma_f32 v66, v60, v56, -v66
	v_fmac_f32_e32 v67, v61, v56
	s_waitcnt vmcnt(1) lgkmcnt(1)
	v_mul_f32_e32 v56, v63, v59
	v_mul_f32_e32 v57, v62, v59
	v_fma_f32 v56, v62, v58, -v56
	v_fmac_f32_e32 v57, v63, v58
	s_waitcnt vmcnt(0) lgkmcnt(0)
	v_mul_f32_e32 v59, v65, v53
	v_mul_f32_e32 v58, v64, v53
	ds_write_b64 v107, v[56:57] offset:8624
	v_fma_f32 v57, v64, v52, -v59
	v_fmac_f32_e32 v58, v65, v52
	ds_write_b64 v107, v[66:67] offset:3696
	ds_write_b64 v107, v[57:58] offset:13552
.LBB0_17:
	s_or_b64 exec, exec, s[4:5]
	s_waitcnt lgkmcnt(0)
	s_barrier
	ds_read2_b64 v[56:59], v107 offset1:231
	ds_read2_b64 v[62:65], v55 offset0:8 offset1:239
	ds_read2_b64 v[66:69], v54 offset0:16 offset1:247
	s_and_saveexec_b64 s[4:5], s[0:1]
	s_cbranch_execz .LBB0_19
; %bb.18:
	ds_read_b64 v[48:49], v107 offset:3696
	ds_read_b64 v[105:106], v107 offset:8624
	;; [unrolled: 1-line block ×3, first 2 shown]
.LBB0_19:
	s_or_b64 exec, exec, s[4:5]
	s_waitcnt lgkmcnt(0)
	v_add_f32_e32 v55, v63, v67
	v_add_f32_e32 v53, v62, v66
	v_fma_f32 v61, -0.5, v55, v57
	v_add_f32_e32 v52, v56, v62
	v_fma_f32 v60, -0.5, v53, v56
	v_sub_f32_e32 v56, v62, v66
	v_mov_b32_e32 v55, v61
	v_fmac_f32_e32 v55, 0x3f5db3d7, v56
	v_fmac_f32_e32 v61, 0xbf5db3d7, v56
	v_add_f32_e32 v56, v58, v64
	v_add_f32_e32 v62, v56, v68
	;; [unrolled: 1-line block ×3, first 2 shown]
	v_sub_f32_e32 v53, v63, v67
	v_mov_b32_e32 v54, v60
	v_fma_f32 v58, -0.5, v56, v58
	v_fmac_f32_e32 v54, 0xbf5db3d7, v53
	v_fmac_f32_e32 v60, 0x3f5db3d7, v53
	v_add_f32_e32 v53, v57, v63
	v_sub_f32_e32 v57, v65, v69
	v_mov_b32_e32 v56, v58
	v_fmac_f32_e32 v56, 0xbf5db3d7, v57
	v_fmac_f32_e32 v58, 0x3f5db3d7, v57
	v_add_f32_e32 v57, v59, v65
	v_add_f32_e32 v63, v57, v69
	;; [unrolled: 1-line block ×3, first 2 shown]
	v_fmac_f32_e32 v59, -0.5, v57
	v_sub_f32_e32 v64, v64, v68
	v_mov_b32_e32 v57, v59
	v_add_f32_e32 v65, v103, v105
	v_fmac_f32_e32 v57, 0x3f5db3d7, v64
	v_fmac_f32_e32 v59, 0xbf5db3d7, v64
	v_add_f32_e32 v64, v105, v48
	v_fmac_f32_e32 v48, -0.5, v65
	v_add_f32_e32 v52, v52, v66
	v_add_f32_e32 v53, v53, v67
	v_sub_f32_e32 v65, v106, v104
	v_mov_b32_e32 v66, v48
	v_add_f32_e32 v67, v104, v106
	v_fmac_f32_e32 v66, 0xbf5db3d7, v65
	v_fmac_f32_e32 v48, 0x3f5db3d7, v65
	v_add_f32_e32 v65, v106, v49
	v_fmac_f32_e32 v49, -0.5, v67
	v_sub_f32_e32 v68, v105, v103
	v_mov_b32_e32 v67, v49
	v_add_f32_e32 v64, v103, v64
	v_add_f32_e32 v65, v104, v65
	v_fmac_f32_e32 v67, 0x3f5db3d7, v68
	v_fmac_f32_e32 v49, 0xbf5db3d7, v68
	s_barrier
	ds_write2_b64 v110, v[52:53], v[54:55] offset1:1
	ds_write_b64 v110, v[60:61] offset:16
	ds_write2_b64 v111, v[62:63], v[56:57] offset1:1
	ds_write_b64 v111, v[58:59] offset:16
	s_and_saveexec_b64 s[4:5], s[0:1]
	s_cbranch_execz .LBB0_21
; %bb.20:
	v_lshlrev_b32_e32 v68, 3, v112
	ds_write2_b64 v68, v[64:65], v[66:67] offset1:1
	ds_write_b64 v68, v[48:49] offset:16
.LBB0_21:
	s_or_b64 exec, exec, s[4:5]
	s_waitcnt lgkmcnt(0)
	s_barrier
	s_and_saveexec_b64 s[4:5], s[2:3]
	s_cbranch_execz .LBB0_23
; %bb.22:
	v_add_u32_e32 v48, 0x800, v107
	ds_read2_b64 v[60:63], v48 offset0:80 offset1:248
	v_add_u32_e32 v48, 0x1400, v107
	ds_read2_b64 v[56:59], v48 offset0:32 offset1:200
	;; [unrolled: 2-line block ×3, first 2 shown]
	v_add_u32_e32 v48, 0x2800, v107
	ds_read2_b64 v[52:55], v107 offset1:168
	ds_read2_b64 v[48:51], v48 offset0:64 offset1:232
	ds_read_b64 v[101:102], v107 offset:13440
.LBB0_23:
	s_or_b64 exec, exec, s[4:5]
	s_waitcnt lgkmcnt(2)
	v_mul_f32_e32 v68, v13, v55
	v_mul_f32_e32 v13, v13, v54
	v_fmac_f32_e32 v68, v12, v54
	v_fma_f32 v54, v12, v55, -v13
	v_mul_f32_e32 v12, v15, v61
	v_mul_f32_e32 v13, v15, v60
	v_fmac_f32_e32 v12, v14, v60
	v_fma_f32 v14, v14, v61, -v13
	v_mul_f32_e32 v13, v9, v63
	v_mul_f32_e32 v9, v9, v62
	v_fma_f32 v15, v8, v63, -v9
	v_mul_f32_e32 v9, v11, v56
	v_fmac_f32_e32 v13, v8, v62
	v_mul_f32_e32 v8, v11, v57
	v_fma_f32 v55, v10, v57, -v9
	v_mul_f32_e32 v9, v5, v59
	v_mul_f32_e32 v5, v5, v58
	;; [unrolled: 1-line block ×4, first 2 shown]
	v_fmac_f32_e32 v8, v10, v56
	v_fma_f32 v57, v4, v59, -v5
	v_fmac_f32_e32 v11, v0, v66
	v_fma_f32 v59, v0, v67, -v1
	s_waitcnt lgkmcnt(1)
	v_mul_f32_e32 v56, v3, v49
	v_mul_f32_e32 v0, v3, v48
	v_fmac_f32_e32 v56, v2, v48
	v_fma_f32 v49, v2, v49, -v0
	v_mul_f32_e32 v48, v17, v51
	v_mul_f32_e32 v0, v17, v50
	v_fmac_f32_e32 v48, v16, v50
	v_fma_f32 v17, v16, v51, -v0
	s_waitcnt lgkmcnt(0)
	v_mul_f32_e32 v16, v19, v102
	v_mul_f32_e32 v0, v19, v101
	v_fmac_f32_e32 v16, v18, v101
	v_fma_f32 v18, v18, v102, -v0
	v_sub_f32_e32 v117, v54, v18
	v_add_f32_e32 v101, v16, v68
	v_add_f32_e32 v104, v18, v54
	s_mov_b32 s8, 0x3f575c64
	v_mul_f32_e32 v19, 0xbf0a6770, v117
	v_sub_f32_e32 v129, v14, v17
	v_mul_f32_e32 v10, v7, v65
	v_mul_f32_e32 v50, 0x3f575c64, v104
	v_fma_f32 v0, v101, s8, -v19
	s_mov_b32 s9, 0x3ed4b147
	v_add_f32_e32 v118, v48, v12
	v_add_f32_e32 v123, v17, v14
	v_mul_f32_e32 v60, 0xbf68dda4, v129
	v_fmac_f32_e32 v9, v4, v58
	v_fmac_f32_e32 v10, v6, v64
	v_mul_f32_e32 v4, v7, v64
	v_sub_f32_e32 v125, v68, v16
	v_add_f32_e32 v0, v52, v0
	v_mov_b32_e32 v1, v50
	v_mul_f32_e32 v62, 0x3ed4b147, v123
	v_fma_f32 v64, v118, s9, -v60
	v_fmac_f32_e32 v1, 0xbf0a6770, v125
	v_sub_f32_e32 v136, v12, v48
	v_add_f32_e32 v0, v64, v0
	v_mov_b32_e32 v64, v62
	v_add_f32_e32 v1, v53, v1
	v_mul_f32_e32 v51, 0xbf68dda4, v117
	v_fmac_f32_e32 v64, 0xbf68dda4, v136
	v_mul_f32_e32 v61, 0x3ed4b147, v104
	v_fma_f32 v2, v101, s9, -v51
	s_mov_b32 s17, 0xbf27a4f4
	v_add_f32_e32 v1, v64, v1
	v_mul_f32_e32 v64, 0xbf4178ce, v129
	v_fma_f32 v58, v6, v65, -v4
	v_add_f32_e32 v2, v52, v2
	v_mov_b32_e32 v3, v61
	v_mul_f32_e32 v67, 0xbf27a4f4, v123
	v_fma_f32 v65, v118, s17, -v64
	v_fmac_f32_e32 v3, 0xbf68dda4, v125
	s_mov_b32 s16, 0xbe11bafb
	v_mul_f32_e32 v63, 0xbf7d64f0, v117
	v_add_f32_e32 v2, v65, v2
	v_mov_b32_e32 v65, v67
	v_add_f32_e32 v3, v53, v3
	v_mul_f32_e32 v66, 0xbe11bafb, v104
	v_fma_f32 v4, v101, s16, -v63
	v_fmac_f32_e32 v65, 0xbf4178ce, v136
	s_mov_b32 s18, 0xbf75a155
	v_mul_f32_e32 v103, 0x3e903f40, v129
	v_add_f32_e32 v4, v52, v4
	v_mov_b32_e32 v5, v66
	v_add_f32_e32 v3, v65, v3
	v_mul_f32_e32 v111, 0xbf75a155, v123
	v_fma_f32 v65, v118, s18, -v103
	v_fmac_f32_e32 v5, 0xbf7d64f0, v125
	v_mul_f32_e32 v102, 0xbf4178ce, v117
	v_add_f32_e32 v4, v65, v4
	v_mov_b32_e32 v65, v111
	v_add_f32_e32 v5, v53, v5
	v_mul_f32_e32 v110, 0xbf27a4f4, v104
	v_fma_f32 v6, v101, s17, -v102
	v_fmac_f32_e32 v65, 0x3e903f40, v136
	;; [unrolled: 7-line block ×3, first 2 shown]
	v_add_f32_e32 v6, v65, v6
	v_mov_b32_e32 v65, v124
	v_add_f32_e32 v7, v53, v7
	v_fmac_f32_e32 v65, 0x3f7d64f0, v136
	v_sub_f32_e32 v139, v15, v49
	v_add_f32_e32 v7, v65, v7
	v_add_f32_e32 v130, v56, v13
	;; [unrolled: 1-line block ×3, first 2 shown]
	v_mul_f32_e32 v65, 0xbf7d64f0, v139
	v_mul_f32_e32 v69, 0xbe11bafb, v134
	v_fma_f32 v105, v130, s16, -v65
	v_sub_f32_e32 v145, v13, v56
	v_add_f32_e32 v0, v105, v0
	v_mov_b32_e32 v105, v69
	v_fmac_f32_e32 v105, 0xbf7d64f0, v145
	v_add_f32_e32 v1, v105, v1
	v_mul_f32_e32 v105, 0x3e903f40, v139
	v_mul_f32_e32 v112, 0xbf75a155, v134
	v_fma_f32 v106, v130, s18, -v105
	v_add_f32_e32 v2, v106, v2
	v_mov_b32_e32 v106, v112
	v_fmac_f32_e32 v106, 0x3e903f40, v145
	v_mul_f32_e32 v120, 0x3f68dda4, v139
	v_add_f32_e32 v3, v106, v3
	v_mul_f32_e32 v126, 0x3ed4b147, v134
	v_fma_f32 v106, v130, s9, -v120
	v_add_f32_e32 v4, v106, v4
	v_mov_b32_e32 v106, v126
	v_fmac_f32_e32 v106, 0x3f68dda4, v145
	v_mul_f32_e32 v131, 0xbf0a6770, v139
	v_add_f32_e32 v5, v106, v5
	v_mul_f32_e32 v135, 0x3f575c64, v134
	v_fma_f32 v106, v130, s8, -v131
	v_add_f32_e32 v6, v106, v6
	v_mov_b32_e32 v106, v135
	v_fmac_f32_e32 v106, 0xbf0a6770, v145
	v_sub_f32_e32 v147, v55, v59
	v_add_f32_e32 v7, v106, v7
	v_add_f32_e32 v140, v11, v8
	;; [unrolled: 1-line block ×3, first 2 shown]
	v_mul_f32_e32 v106, 0xbf4178ce, v147
	v_mul_f32_e32 v116, 0xbf27a4f4, v143
	v_fma_f32 v121, v140, s17, -v106
	v_sub_f32_e32 v150, v8, v11
	v_add_f32_e32 v0, v121, v0
	v_mov_b32_e32 v121, v116
	v_fmac_f32_e32 v121, 0xbf4178ce, v150
	v_add_f32_e32 v1, v121, v1
	v_mul_f32_e32 v121, 0x3f7d64f0, v147
	v_mul_f32_e32 v127, 0xbe11bafb, v143
	v_fma_f32 v122, v140, s16, -v121
	v_add_f32_e32 v2, v122, v2
	v_mov_b32_e32 v122, v127
	v_fmac_f32_e32 v122, 0x3f7d64f0, v150
	v_mul_f32_e32 v132, 0xbf0a6770, v147
	v_add_f32_e32 v3, v122, v3
	v_mul_f32_e32 v137, 0x3f575c64, v143
	v_fma_f32 v122, v140, s8, -v132
	v_add_f32_e32 v149, v122, v4
	v_mov_b32_e32 v4, v137
	v_fmac_f32_e32 v4, 0xbf0a6770, v150
	v_mul_f32_e32 v141, 0xbe903f40, v147
	v_add_f32_e32 v152, v4, v5
	v_mul_f32_e32 v144, 0xbf75a155, v143
	v_fma_f32 v4, v140, s18, -v141
	v_add_f32_e32 v155, v4, v6
	v_mov_b32_e32 v4, v144
	v_sub_f32_e32 v153, v57, v58
	v_fmac_f32_e32 v4, 0xbe903f40, v150
	v_add_f32_e32 v148, v10, v9
	v_add_f32_e32 v151, v58, v57
	v_mul_f32_e32 v122, 0xbe903f40, v153
	v_add_f32_e32 v156, v4, v7
	v_mul_f32_e32 v128, 0xbf75a155, v151
	v_fma_f32 v4, v148, s18, -v122
	v_sub_f32_e32 v154, v9, v10
	v_add_f32_e32 v4, v4, v0
	v_mov_b32_e32 v0, v128
	v_fmac_f32_e32 v0, 0xbe903f40, v154
	v_mul_f32_e32 v133, 0x3f0a6770, v153
	v_add_f32_e32 v5, v0, v1
	v_mul_f32_e32 v138, 0x3f575c64, v151
	v_fma_f32 v0, v148, s8, -v133
	v_add_f32_e32 v2, v0, v2
	v_mov_b32_e32 v0, v138
	v_fmac_f32_e32 v0, 0x3f0a6770, v154
	v_mul_f32_e32 v142, 0xbf4178ce, v153
	v_add_f32_e32 v3, v0, v3
	v_mul_f32_e32 v146, 0xbf27a4f4, v151
	v_fma_f32 v0, v148, s17, -v142
	v_add_f32_e32 v6, v0, v149
	v_mov_b32_e32 v0, v146
	v_fmac_f32_e32 v0, 0xbf4178ce, v154
	v_add_f32_e32 v7, v0, v152
	v_mul_f32_e32 v152, 0x3ed4b147, v151
	v_mul_f32_e32 v149, 0x3f68dda4, v153
	v_mov_b32_e32 v1, v152
	v_fma_f32 v0, v148, s9, -v149
	v_fmac_f32_e32 v1, 0x3f68dda4, v154
	v_add_f32_e32 v0, v0, v155
	v_add_f32_e32 v1, v1, v156
	s_barrier
	s_and_saveexec_b64 s[4:5], s[2:3]
	s_cbranch_execz .LBB0_25
; %bb.24:
	v_mul_f32_e32 v156, 0xbf0a6770, v125
	v_mul_f32_e32 v158, 0xbf68dda4, v125
	v_mul_f32_e32 v160, 0xbf7d64f0, v125
	v_mul_f32_e32 v162, 0xbf4178ce, v125
	v_mul_f32_e32 v125, 0xbe903f40, v125
	v_mul_f32_e32 v164, 0xbf68dda4, v136
	v_mul_f32_e32 v166, 0xbf4178ce, v136
	v_mul_f32_e32 v168, 0x3e903f40, v136
	v_mul_f32_e32 v170, 0x3f7d64f0, v136
	v_mov_b32_e32 v195, v125
	v_mul_f32_e32 v136, 0x3f0a6770, v136
	v_fmac_f32_e32 v195, 0xbf75a155, v104
	v_mov_b32_e32 v196, v136
	v_mul_f32_e32 v172, 0xbf7d64f0, v145
	v_mul_f32_e32 v174, 0x3e903f40, v145
	;; [unrolled: 1-line block ×4, first 2 shown]
	v_add_f32_e32 v195, v53, v195
	v_fmac_f32_e32 v196, 0x3f575c64, v123
	v_mul_f32_e32 v145, 0xbf4178ce, v145
	v_add_f32_e32 v195, v196, v195
	v_mov_b32_e32 v196, v145
	v_mul_f32_e32 v180, 0xbf4178ce, v150
	v_mul_f32_e32 v182, 0x3f7d64f0, v150
	;; [unrolled: 1-line block ×4, first 2 shown]
	v_fmac_f32_e32 v196, 0xbf27a4f4, v134
	v_mul_f32_e32 v150, 0x3f68dda4, v150
	v_add_f32_e32 v195, v196, v195
	v_mov_b32_e32 v196, v150
	v_fmac_f32_e32 v196, 0x3ed4b147, v143
	v_add_f32_e32 v195, v196, v195
	v_mul_f32_e32 v196, 0xbf7d64f0, v154
	v_mul_f32_e32 v188, 0xbe903f40, v154
	;; [unrolled: 1-line block ×5, first 2 shown]
	v_mov_b32_e32 v154, v196
	v_fmac_f32_e32 v154, 0xbe11bafb, v151
	v_mul_f32_e32 v117, 0xbe903f40, v117
	v_add_f32_e32 v154, v154, v195
	v_fma_f32 v195, v101, s18, -v117
	v_mul_f32_e32 v129, 0x3f0a6770, v129
	v_add_f32_e32 v195, v52, v195
	v_fma_f32 v197, v118, s8, -v129
	v_mul_f32_e32 v139, 0xbf4178ce, v139
	v_fmac_f32_e32 v117, 0xbf75a155, v101
	v_mul_f32_e32 v155, 0x3f575c64, v101
	v_mul_f32_e32 v157, 0x3ed4b147, v101
	;; [unrolled: 1-line block ×4, first 2 shown]
	v_add_f32_e32 v195, v197, v195
	v_fma_f32 v197, v130, s17, -v139
	v_mul_f32_e32 v147, 0x3f68dda4, v147
	v_fma_f32 v104, v104, s18, -v125
	v_add_f32_e32 v101, v52, v117
	v_fmac_f32_e32 v129, 0x3f575c64, v118
	v_add_f32_e32 v195, v197, v195
	v_fma_f32 v197, v140, s9, -v147
	v_add_f32_e32 v104, v53, v104
	v_fma_f32 v123, v123, s8, -v136
	v_add_f32_e32 v101, v129, v101
	v_fmac_f32_e32 v139, 0xbf27a4f4, v130
	v_add_f32_e32 v195, v197, v195
	v_mul_f32_e32 v197, 0xbf7d64f0, v153
	v_add_f32_e32 v104, v123, v104
	v_fma_f32 v123, v134, s17, -v145
	v_add_f32_e32 v101, v139, v101
	v_fmac_f32_e32 v147, 0x3ed4b147, v140
	v_fma_f32 v153, v148, s16, -v197
	v_add_f32_e32 v104, v123, v104
	v_fma_f32 v123, v143, s9, -v150
	v_add_f32_e32 v101, v147, v101
	v_fmac_f32_e32 v197, 0xbe11bafb, v148
	v_add_f32_e32 v104, v123, v104
	v_fma_f32 v123, v151, s16, -v196
	v_add_f32_e32 v150, v197, v101
	v_sub_f32_e32 v101, v110, v162
	v_add_f32_e32 v151, v123, v104
	v_add_f32_e32 v101, v53, v101
	v_sub_f32_e32 v104, v124, v170
	v_add_f32_e32 v101, v104, v101
	v_sub_f32_e32 v104, v135, v178
	;; [unrolled: 2-line block ×4, first 2 shown]
	v_mul_f32_e32 v163, 0x3ed4b147, v118
	v_mul_f32_e32 v165, 0xbf27a4f4, v118
	;; [unrolled: 1-line block ×4, first 2 shown]
	v_add_f32_e32 v118, v104, v101
	v_add_f32_e32 v101, v161, v102
	v_mul_f32_e32 v177, 0x3f575c64, v130
	v_add_f32_e32 v101, v52, v101
	v_add_f32_e32 v102, v169, v119
	v_mul_f32_e32 v185, 0xbf75a155, v140
	;; [unrolled: 3-line block ×3, first 2 shown]
	v_add_f32_e32 v101, v102, v101
	v_add_f32_e32 v102, v185, v141
	v_add_f32_e32 v101, v102, v101
	v_add_f32_e32 v102, v193, v149
	v_sub_f32_e32 v66, v66, v160
	v_add_f32_e32 v117, v102, v101
	v_add_f32_e32 v66, v53, v66
	v_sub_f32_e32 v101, v111, v168
	v_add_f32_e32 v66, v101, v66
	v_sub_f32_e32 v101, v126, v176
	v_add_f32_e32 v66, v101, v66
	v_sub_f32_e32 v101, v137, v184
	v_add_f32_e32 v66, v101, v66
	v_sub_f32_e32 v101, v146, v192
	v_add_f32_e32 v63, v159, v63
	v_mul_f32_e32 v175, 0x3ed4b147, v130
	v_add_f32_e32 v102, v101, v66
	v_add_f32_e32 v63, v52, v63
	v_add_f32_e32 v66, v167, v103
	v_mul_f32_e32 v183, 0x3f575c64, v140
	v_add_f32_e32 v63, v66, v63
	v_add_f32_e32 v66, v175, v120
	v_mul_f32_e32 v191, 0xbf27a4f4, v148
	v_add_f32_e32 v63, v66, v63
	v_add_f32_e32 v66, v183, v132
	v_add_f32_e32 v63, v66, v63
	v_add_f32_e32 v66, v191, v142
	v_sub_f32_e32 v61, v61, v158
	v_add_f32_e32 v101, v66, v63
	v_add_f32_e32 v61, v53, v61
	v_sub_f32_e32 v63, v67, v166
	v_add_f32_e32 v61, v63, v61
	v_sub_f32_e32 v63, v112, v174
	v_add_f32_e32 v61, v63, v61
	v_sub_f32_e32 v63, v127, v182
	v_add_f32_e32 v61, v63, v61
	v_sub_f32_e32 v63, v138, v190
	v_add_f32_e32 v51, v157, v51
	v_mul_f32_e32 v173, 0xbf75a155, v130
	v_add_f32_e32 v67, v63, v61
	v_add_f32_e32 v51, v52, v51
	v_add_f32_e32 v61, v165, v64
	v_mul_f32_e32 v181, 0xbe11bafb, v140
	v_add_f32_e32 v51, v61, v51
	v_add_f32_e32 v61, v173, v105
	v_mul_f32_e32 v189, 0x3f575c64, v148
	v_add_f32_e32 v51, v61, v51
	v_add_f32_e32 v61, v181, v121
	v_add_f32_e32 v51, v61, v51
	v_add_f32_e32 v61, v189, v133
	v_sub_f32_e32 v50, v50, v156
	v_add_f32_e32 v66, v61, v51
	v_add_f32_e32 v50, v53, v50
	v_sub_f32_e32 v51, v62, v164
	v_add_f32_e32 v50, v51, v50
	v_sub_f32_e32 v51, v69, v172
	v_add_f32_e32 v50, v51, v50
	v_sub_f32_e32 v51, v116, v180
	v_add_f32_e32 v50, v51, v50
	v_sub_f32_e32 v51, v128, v188
	v_add_f32_e32 v19, v155, v19
	v_mul_f32_e32 v171, 0xbe11bafb, v130
	v_add_f32_e32 v51, v51, v50
	v_add_f32_e32 v19, v52, v19
	v_add_f32_e32 v50, v163, v60
	v_mul_f32_e32 v179, 0xbf27a4f4, v140
	v_add_f32_e32 v19, v50, v19
	v_add_f32_e32 v50, v171, v65
	v_mul_f32_e32 v187, 0xbf75a155, v148
	v_add_f32_e32 v19, v50, v19
	v_add_f32_e32 v50, v179, v106
	;; [unrolled: 1-line block ×25, first 2 shown]
	v_add_lshl_u32 v8, v113, v109, 3
	v_add_f32_e32 v153, v153, v195
	ds_write2_b64 v8, v[13:14], v[50:51] offset1:3
	ds_write2_b64 v8, v[66:67], v[101:102] offset0:6 offset1:9
	ds_write2_b64 v8, v[117:118], v[150:151] offset0:12 offset1:15
	;; [unrolled: 1-line block ×4, first 2 shown]
	ds_write_b64 v8, v[4:5] offset:240
.LBB0_25:
	s_or_b64 exec, exec, s[4:5]
	s_waitcnt lgkmcnt(0)
	s_barrier
	ds_read_b64 v[8:9], v107
	ds_read_b64 v[48:49], v107 offset:2112
	ds_read_b64 v[18:19], v107 offset:4224
	;; [unrolled: 1-line block ×6, first 2 shown]
	s_and_saveexec_b64 s[2:3], s[6:7]
	s_cbranch_execz .LBB0_27
; %bb.26:
	ds_read_b64 v[0:1], v107 offset:1848
	ds_read_b64 v[6:7], v107 offset:3960
	;; [unrolled: 1-line block ×7, first 2 shown]
.LBB0_27:
	s_or_b64 exec, exec, s[2:3]
	s_waitcnt lgkmcnt(5)
	v_mul_f32_e32 v50, v41, v49
	v_mul_f32_e32 v41, v41, v48
	v_fmac_f32_e32 v50, v40, v48
	v_fma_f32 v40, v40, v49, -v41
	s_waitcnt lgkmcnt(4)
	v_mul_f32_e32 v41, v43, v19
	v_fmac_f32_e32 v41, v42, v18
	v_mul_f32_e32 v18, v43, v18
	v_fma_f32 v18, v42, v19, -v18
	s_waitcnt lgkmcnt(3)
	v_mul_f32_e32 v19, v37, v17
	v_fmac_f32_e32 v19, v36, v16
	v_mul_f32_e32 v16, v37, v16
	;; [unrolled: 5-line block ×5, first 2 shown]
	v_fma_f32 v10, v34, v11, -v10
	v_add_f32_e32 v11, v50, v13
	v_add_f32_e32 v33, v41, v15
	;; [unrolled: 1-line block ×4, first 2 shown]
	v_sub_f32_e32 v12, v18, v12
	v_add_f32_e32 v18, v19, v17
	v_add_f32_e32 v35, v16, v14
	v_sub_f32_e32 v14, v14, v16
	v_add_f32_e32 v16, v33, v11
	v_sub_f32_e32 v17, v17, v19
	v_add_f32_e32 v19, v34, v32
	v_add_f32_e32 v16, v18, v16
	v_sub_f32_e32 v15, v41, v15
	v_sub_f32_e32 v36, v33, v11
	;; [unrolled: 1-line block ×4, first 2 shown]
	v_add_f32_e32 v18, v35, v19
	v_add_f32_e32 v8, v8, v16
	v_sub_f32_e32 v13, v50, v13
	v_sub_f32_e32 v10, v40, v10
	;; [unrolled: 1-line block ×5, first 2 shown]
	v_add_f32_e32 v38, v17, v15
	v_add_f32_e32 v39, v14, v12
	v_sub_f32_e32 v40, v17, v15
	v_sub_f32_e32 v41, v14, v12
	v_add_f32_e32 v9, v9, v18
	v_mov_b32_e32 v42, v8
	v_sub_f32_e32 v17, v13, v17
	v_sub_f32_e32 v14, v10, v14
	;; [unrolled: 1-line block ×4, first 2 shown]
	v_add_f32_e32 v13, v38, v13
	v_add_f32_e32 v10, v39, v10
	v_mul_f32_e32 v11, 0x3f4a47b2, v11
	v_mul_f32_e32 v19, 0x3f4a47b2, v32
	;; [unrolled: 1-line block ×6, first 2 shown]
	s_mov_b32 s4, 0xbf5ff5aa
	v_fmac_f32_e32 v42, 0xbf955555, v16
	v_mov_b32_e32 v16, v9
	s_mov_b32 s5, 0x3f3bfb3b
	s_mov_b32 s8, 0xbf3bfb3b
	v_mul_f32_e32 v40, 0xbf5ff5aa, v15
	v_mul_f32_e32 v41, 0xbf5ff5aa, v12
	v_fmac_f32_e32 v16, 0xbf955555, v18
	v_fma_f32 v18, v36, s5, -v32
	v_fma_f32 v32, v37, s5, -v35
	;; [unrolled: 1-line block ×3, first 2 shown]
	v_fmac_f32_e32 v11, 0x3d64c772, v33
	v_fma_f32 v33, v37, s8, -v19
	v_fmac_f32_e32 v19, 0x3d64c772, v34
	v_fma_f32 v34, v15, s4, -v38
	;; [unrolled: 2-line block ×3, first 2 shown]
	v_fmac_f32_e32 v39, 0xbeae86e6, v14
	s_mov_b32 s9, 0x3eae86e6
	v_fma_f32 v37, v17, s9, -v40
	v_fma_f32 v40, v14, s9, -v41
	v_add_f32_e32 v41, v11, v42
	v_add_f32_e32 v43, v19, v16
	v_fmac_f32_e32 v38, 0xbee1c552, v13
	v_fmac_f32_e32 v39, 0xbee1c552, v10
	v_add_f32_e32 v17, v18, v42
	v_add_f32_e32 v18, v32, v16
	;; [unrolled: 1-line block ×4, first 2 shown]
	v_fmac_f32_e32 v34, 0xbee1c552, v13
	v_fmac_f32_e32 v36, 0xbee1c552, v10
	;; [unrolled: 1-line block ×4, first 2 shown]
	v_add_f32_e32 v10, v39, v41
	v_sub_f32_e32 v11, v43, v38
	v_add_f32_e32 v12, v40, v19
	v_sub_f32_e32 v13, v32, v37
	v_sub_f32_e32 v14, v17, v36
	v_add_f32_e32 v15, v34, v18
	v_add_f32_e32 v16, v36, v17
	v_sub_f32_e32 v17, v18, v34
	v_sub_f32_e32 v18, v19, v40
	v_add_f32_e32 v19, v37, v32
	v_sub_f32_e32 v32, v41, v39
	v_add_f32_e32 v33, v38, v43
	s_barrier
	ds_write2_b64 v115, v[8:9], v[10:11] offset1:33
	ds_write2_b64 v115, v[12:13], v[14:15] offset0:66 offset1:99
	ds_write2_b64 v115, v[16:17], v[18:19] offset0:132 offset1:165
	ds_write_b64 v115, v[32:33] offset:1584
	s_and_saveexec_b64 s[2:3], s[6:7]
	s_cbranch_execz .LBB0_29
; %bb.28:
	v_mul_f32_e32 v12, v25, v5
	v_mul_f32_e32 v8, v29, v7
	;; [unrolled: 1-line block ×4, first 2 shown]
	v_fmac_f32_e32 v12, v24, v4
	v_mul_f32_e32 v4, v25, v4
	v_fmac_f32_e32 v8, v28, v6
	v_fmac_f32_e32 v9, v22, v91
	;; [unrolled: 1-line block ×3, first 2 shown]
	v_mul_f32_e32 v23, v23, v91
	v_mul_f32_e32 v6, v29, v6
	v_fma_f32 v4, v24, v5, -v4
	v_mul_f32_e32 v5, v27, v89
	v_sub_f32_e32 v10, v8, v9
	v_mul_f32_e32 v15, v31, v3
	v_mul_f32_e32 v16, v21, v88
	v_fma_f32 v22, v22, v92, -v23
	v_fma_f32 v6, v28, v7, -v6
	;; [unrolled: 1-line block ×3, first 2 shown]
	v_add_f32_e32 v8, v9, v8
	v_add_f32_e32 v9, v12, v11
	v_sub_f32_e32 v13, v11, v12
	v_fmac_f32_e32 v15, v30, v2
	v_fmac_f32_e32 v16, v20, v87
	v_add_f32_e32 v7, v22, v6
	v_add_f32_e32 v23, v4, v5
	v_mul_f32_e32 v21, v21, v87
	v_mul_f32_e32 v2, v31, v2
	v_sub_f32_e32 v11, v8, v9
	v_sub_f32_e32 v24, v7, v23
	v_fma_f32 v20, v20, v88, -v21
	v_fma_f32 v2, v30, v3, -v2
	v_mul_f32_e32 v11, 0x3f4a47b2, v11
	v_add_f32_e32 v12, v16, v15
	v_sub_f32_e32 v17, v15, v16
	v_mul_f32_e32 v24, 0x3f4a47b2, v24
	v_add_f32_e32 v21, v20, v2
	v_sub_f32_e32 v15, v9, v12
	v_mov_b32_e32 v27, v11
	v_sub_f32_e32 v3, v23, v21
	v_mov_b32_e32 v26, v24
	v_mul_f32_e32 v16, 0x3d64c772, v15
	v_fmac_f32_e32 v27, 0x3d64c772, v15
	v_add_f32_e32 v15, v12, v8
	v_mul_f32_e32 v25, 0x3d64c772, v3
	v_fmac_f32_e32 v26, 0x3d64c772, v3
	v_add_f32_e32 v3, v21, v7
	v_add_f32_e32 v9, v9, v15
	v_sub_f32_e32 v14, v10, v13
	v_sub_f32_e32 v18, v13, v17
	v_add_f32_e32 v13, v13, v17
	v_add_f32_e32 v3, v23, v3
	;; [unrolled: 1-line block ×3, first 2 shown]
	v_sub_f32_e32 v4, v5, v4
	v_sub_f32_e32 v20, v2, v20
	v_mul_f32_e32 v18, 0x3f08b237, v18
	v_add_f32_e32 v13, v13, v10
	v_add_f32_e32 v1, v1, v3
	v_mov_b32_e32 v15, v0
	v_sub_f32_e32 v6, v6, v22
	v_sub_f32_e32 v2, v4, v20
	;; [unrolled: 1-line block ×3, first 2 shown]
	v_mov_b32_e32 v19, v18
	v_mov_b32_e32 v23, v1
	v_fmac_f32_e32 v15, 0xbf955555, v9
	v_sub_f32_e32 v9, v6, v4
	v_mul_f32_e32 v22, 0x3f08b237, v2
	v_add_f32_e32 v2, v4, v20
	v_mul_f32_e32 v4, 0xbf5ff5aa, v10
	v_sub_f32_e32 v7, v21, v7
	v_fmac_f32_e32 v19, 0xbeae86e6, v14
	v_fmac_f32_e32 v23, 0xbf955555, v3
	v_fma_f32 v14, v14, s9, -v4
	v_fma_f32 v4, v7, s8, -v24
	v_sub_f32_e32 v8, v12, v8
	v_add_f32_e32 v29, v2, v6
	v_add_f32_e32 v17, v4, v23
	v_fma_f32 v4, v8, s8, -v11
	v_sub_f32_e32 v6, v20, v6
	v_mov_b32_e32 v28, v22
	v_add_f32_e32 v12, v4, v15
	v_mul_f32_e32 v4, 0xbf5ff5aa, v6
	v_fmac_f32_e32 v28, 0xbeae86e6, v9
	v_fma_f32 v20, v9, s9, -v4
	v_fma_f32 v7, v7, s5, -v25
	;; [unrolled: 1-line block ×5, first 2 shown]
	v_fmac_f32_e32 v19, 0xbee1c552, v13
	v_add_f32_e32 v26, v26, v23
	v_add_f32_e32 v27, v27, v15
	v_fmac_f32_e32 v28, 0xbee1c552, v29
	v_fmac_f32_e32 v14, 0xbee1c552, v13
	v_fmac_f32_e32 v20, 0xbee1c552, v29
	v_add_f32_e32 v9, v7, v23
	v_fmac_f32_e32 v10, 0xbee1c552, v13
	v_fmac_f32_e32 v11, 0xbee1c552, v29
	v_add_f32_e32 v8, v6, v15
	v_add_f32_e32 v5, v14, v17
	v_sub_f32_e32 v4, v12, v20
	v_sub_f32_e32 v7, v9, v10
	v_add_f32_e32 v6, v11, v8
	v_add_f32_e32 v9, v10, v9
	v_sub_f32_e32 v8, v8, v11
	v_sub_f32_e32 v11, v17, v14
	v_add_f32_e32 v10, v20, v12
	v_sub_f32_e32 v13, v26, v19
	v_add_f32_e32 v12, v28, v27
	v_add_u32_e32 v14, 0x3000, v114
	v_add_f32_e32 v3, v19, v26
	v_sub_f32_e32 v2, v27, v28
	ds_write2_b64 v14, v[0:1], v[12:13] offset0:81 offset1:114
	ds_write2_b64 v14, v[10:11], v[8:9] offset0:147 offset1:180
	;; [unrolled: 1-line block ×3, first 2 shown]
	ds_write_b64 v114, v[2:3] offset:14520
.LBB0_29:
	s_or_b64 exec, exec, s[2:3]
	v_add_u32_e32 v16, 0xe00, v107
	s_waitcnt lgkmcnt(0)
	s_barrier
	ds_read2_b64 v[4:7], v16 offset0:14 offset1:245
	v_add_u32_e32 v17, 0x1c80, v107
	ds_read2_b64 v[8:11], v17 offset0:12 offset1:243
	v_add_u32_e32 v18, 0x2b00, v107
	ds_read2_b64 v[12:15], v18 offset0:10 offset1:241
	s_waitcnt lgkmcnt(2)
	v_mul_f32_e32 v19, v45, v5
	v_fmac_f32_e32 v19, v44, v4
	v_mul_f32_e32 v4, v45, v4
	v_fma_f32 v4, v44, v5, -v4
	s_waitcnt lgkmcnt(1)
	v_mul_f32_e32 v5, v47, v9
	v_fmac_f32_e32 v5, v46, v8
	v_mul_f32_e32 v8, v47, v8
	v_fma_f32 v8, v46, v9, -v8
	s_waitcnt lgkmcnt(0)
	v_mul_f32_e32 v9, v86, v13
	ds_read2_b64 v[0:3], v107 offset1:231
	v_fmac_f32_e32 v9, v85, v12
	v_mul_f32_e32 v12, v86, v12
	v_fma_f32 v12, v85, v13, -v12
	v_mul_f32_e32 v13, v45, v7
	v_fmac_f32_e32 v13, v44, v6
	v_mul_f32_e32 v6, v45, v6
	v_fma_f32 v20, v44, v7, -v6
	v_mul_f32_e32 v21, v47, v11
	v_mul_f32_e32 v6, v47, v10
	v_fmac_f32_e32 v21, v46, v10
	v_fma_f32 v10, v46, v11, -v6
	v_mul_f32_e32 v11, v86, v15
	v_mul_f32_e32 v6, v86, v14
	v_fmac_f32_e32 v11, v85, v14
	v_fma_f32 v14, v85, v15, -v6
	s_waitcnt lgkmcnt(0)
	v_sub_f32_e32 v15, v0, v5
	v_sub_f32_e32 v22, v1, v8
	;; [unrolled: 1-line block ×4, first 2 shown]
	v_fma_f32 v5, v0, 2.0, -v15
	v_fma_f32 v6, v1, 2.0, -v22
	;; [unrolled: 1-line block ×4, first 2 shown]
	v_sub_f32_e32 v0, v5, v0
	v_sub_f32_e32 v1, v6, v1
	v_fma_f32 v4, v5, 2.0, -v0
	v_fma_f32 v5, v6, 2.0, -v1
	v_add_f32_e32 v6, v15, v8
	v_sub_f32_e32 v19, v3, v10
	v_sub_f32_e32 v14, v20, v14
	v_fma_f32 v8, v15, 2.0, -v6
	v_sub_f32_e32 v15, v2, v21
	v_fma_f32 v12, v3, 2.0, -v19
	;; [unrolled: 2-line block ×3, first 2 shown]
	v_fma_f32 v10, v2, 2.0, -v15
	v_fma_f32 v2, v13, 2.0, -v21
	v_sub_f32_e32 v3, v12, v3
	v_sub_f32_e32 v7, v22, v7
	;; [unrolled: 1-line block ×3, first 2 shown]
	v_fma_f32 v11, v12, 2.0, -v3
	v_add_f32_e32 v12, v15, v14
	v_sub_f32_e32 v13, v19, v21
	v_fma_f32 v9, v22, 2.0, -v7
	v_fma_f32 v10, v10, 2.0, -v2
	;; [unrolled: 1-line block ×4, first 2 shown]
	s_barrier
	ds_write2_b64 v107, v[4:5], v[8:9] offset1:231
	ds_write2_b64 v16, v[0:1], v[6:7] offset0:14 offset1:245
	ds_write2_b64 v17, v[10:11], v[14:15] offset0:12 offset1:243
	;; [unrolled: 1-line block ×3, first 2 shown]
	s_waitcnt lgkmcnt(0)
	s_barrier
	ds_read2_b64 v[0:3], v17 offset0:12 offset1:243
	ds_read2_b64 v[4:7], v107 offset1:231
	ds_read2_b64 v[8:11], v16 offset0:14 offset1:245
	ds_read2_b64 v[12:15], v18 offset0:10 offset1:241
	s_mul_hi_u32 s7, s12, 0xfffffc17
	s_waitcnt lgkmcnt(3)
	v_mul_f32_e32 v17, v98, v1
	v_fmac_f32_e32 v17, v97, v0
	v_mul_f32_e32 v0, v98, v0
	v_fma_f32 v1, v97, v1, -v0
	v_mul_f32_e32 v0, v94, v2
	v_fma_f32 v19, v93, v3, -v0
	s_waitcnt lgkmcnt(0)
	v_mul_f32_e32 v0, v96, v12
	v_mul_f32_e32 v18, v94, v3
	;; [unrolled: 1-line block ×3, first 2 shown]
	v_fma_f32 v13, v95, v13, -v0
	v_mul_f32_e32 v0, v100, v14
	v_fmac_f32_e32 v18, v93, v2
	v_mul_f32_e32 v21, v100, v15
	v_fma_f32 v15, v99, v15, -v0
	v_sub_f32_e32 v0, v4, v17
	v_sub_f32_e32 v1, v5, v1
	v_fmac_f32_e32 v20, v95, v12
	v_fmac_f32_e32 v21, v99, v14
	v_fma_f32 v2, v4, 2.0, -v0
	v_fma_f32 v3, v5, 2.0, -v1
	v_sub_f32_e32 v4, v6, v18
	v_sub_f32_e32 v5, v7, v19
	v_fma_f32 v6, v6, 2.0, -v4
	v_fma_f32 v7, v7, 2.0, -v5
	v_sub_f32_e32 v12, v8, v20
	v_sub_f32_e32 v13, v9, v13
	;; [unrolled: 1-line block ×4, first 2 shown]
	ds_write_b64 v107, v[0:1] offset:7392
	ds_write2_b64 v107, v[2:3], v[6:7] offset1:231
	v_add_u32_e32 v0, 0x2400, v107
	v_fma_f32 v8, v8, 2.0, -v12
	v_fma_f32 v9, v9, 2.0, -v13
	;; [unrolled: 1-line block ×4, first 2 shown]
	ds_write2_b64 v0, v[4:5], v[12:13] offset0:3 offset1:234
	ds_write2_b64 v16, v[8:9], v[10:11] offset0:14 offset1:245
	ds_write_b64 v107, v[14:15] offset:12936
	s_waitcnt lgkmcnt(0)
	s_barrier
	ds_read2_b64 v[0:3], v107 offset1:231
	v_mad_u64_u32 v[8:9], s[2:3], s14, v72, 0
	s_mov_b32 s2, 0x4046ed29
	s_mov_b32 s3, 0x3f41bb4a
	s_waitcnt lgkmcnt(0)
	v_mul_f32_e32 v4, v84, v1
	v_fmac_f32_e32 v4, v83, v0
	v_cvt_f64_f32_e32 v[4:5], v4
	v_mul_f32_e32 v0, v84, v0
	v_fma_f32 v0, v83, v1, -v0
	v_cvt_f64_f32_e32 v[0:1], v0
	v_mul_f64 v[4:5], v[4:5], s[2:3]
	v_mad_u64_u32 v[10:11], s[4:5], s12, v108, 0
	v_mov_b32_e32 v6, v9
	v_mad_u64_u32 v[6:7], s[4:5], s15, v72, v[6:7]
	v_mul_f64 v[0:1], v[0:1], s[2:3]
	s_mul_i32 s6, s13, 0xfffffc17
	v_cvt_f32_f64_e32 v12, v[4:5]
	v_mov_b32_e32 v4, v11
	v_mad_u64_u32 v[14:15], s[4:5], s13, v108, v[4:5]
	v_add_u32_e32 v4, 0x1300, v107
	v_mov_b32_e32 v9, v6
	ds_read2_b64 v[4:7], v4 offset0:8 offset1:239
	v_cvt_f32_f64_e32 v13, v[0:1]
	v_lshlrev_b64 v[0:1], 3, v[8:9]
	v_mov_b32_e32 v11, v14
	v_mov_b32_e32 v14, s11
	s_waitcnt lgkmcnt(0)
	v_mul_f32_e32 v8, v82, v5
	v_fmac_f32_e32 v8, v81, v4
	v_mul_f32_e32 v4, v82, v4
	v_fma_f32 v4, v81, v5, -v4
	v_cvt_f64_f32_e32 v[8:9], v8
	v_cvt_f64_f32_e32 v[4:5], v4
	v_add_co_u32_e32 v15, vcc, s10, v0
	v_addc_co_u32_e32 v16, vcc, v14, v1, vcc
	v_mul_f64 v[0:1], v[8:9], s[2:3]
	v_mul_f64 v[4:5], v[4:5], s[2:3]
	v_lshlrev_b64 v[8:9], 3, v[10:11]
	s_mul_i32 s4, s13, 0x268
	v_add_co_u32_e32 v14, vcc, v15, v8
	v_addc_co_u32_e32 v15, vcc, v16, v9, vcc
	v_cvt_f32_f64_e32 v0, v[0:1]
	v_cvt_f32_f64_e32 v1, v[4:5]
	v_add_u32_e32 v4, 0x2600, v107
	ds_read2_b64 v[8:11], v4 offset0:16 offset1:247
	s_mul_hi_u32 s5, s12, 0x268
	s_add_i32 s5, s5, s4
	s_mul_i32 s4, s12, 0x268
	s_lshl_b64 s[4:5], s[4:5], 3
	s_waitcnt lgkmcnt(0)
	v_mul_f32_e32 v4, v78, v9
	v_fmac_f32_e32 v4, v77, v8
	v_mul_f32_e32 v8, v78, v8
	v_fma_f32 v8, v77, v9, -v8
	v_cvt_f64_f32_e32 v[4:5], v4
	v_cvt_f64_f32_e32 v[8:9], v8
	global_store_dwordx2 v[14:15], v[12:13], off
	v_add_co_u32_e32 v12, vcc, s4, v14
	v_mul_f32_e32 v14, v80, v3
	v_fmac_f32_e32 v14, v79, v2
	v_mul_f32_e32 v2, v80, v2
	v_fma_f32 v2, v79, v3, -v2
	v_mul_f64 v[4:5], v[4:5], s[2:3]
	v_mul_f64 v[8:9], v[8:9], s[2:3]
	v_cvt_f64_f32_e32 v[2:3], v2
	v_mov_b32_e32 v16, s5
	v_addc_co_u32_e32 v13, vcc, v15, v16, vcc
	v_mul_f64 v[2:3], v[2:3], s[2:3]
	v_cvt_f64_f32_e32 v[14:15], v14
	global_store_dwordx2 v[12:13], v[0:1], off
	v_cvt_f32_f64_e32 v0, v[4:5]
	v_cvt_f32_f64_e32 v1, v[8:9]
	v_mul_f64 v[4:5], v[14:15], s[2:3]
	v_add_co_u32_e32 v8, vcc, s4, v12
	v_addc_co_u32_e32 v9, vcc, v13, v16, vcc
	global_store_dwordx2 v[8:9], v[0:1], off
	v_cvt_f32_f64_e32 v1, v[2:3]
	v_mul_f32_e32 v2, v76, v7
	v_fmac_f32_e32 v2, v75, v6
	v_cvt_f64_f32_e32 v[2:3], v2
	s_sub_i32 s7, s7, s12
	s_add_i32 s7, s7, s6
	s_mul_i32 s6, s12, 0xfffffc17
	v_cvt_f32_f64_e32 v0, v[4:5]
	s_lshl_b64 s[6:7], s[6:7], 3
	v_mul_f32_e32 v4, v76, v6
	v_mul_f64 v[2:3], v[2:3], s[2:3]
	v_fma_f32 v4, v75, v7, -v4
	v_add_co_u32_e32 v6, vcc, s6, v8
	v_mul_f32_e32 v8, v74, v11
	v_cvt_f64_f32_e32 v[4:5], v4
	v_fmac_f32_e32 v8, v73, v10
	v_mul_f32_e32 v10, v74, v10
	v_mov_b32_e32 v12, s7
	v_fma_f32 v10, v73, v11, -v10
	v_addc_co_u32_e32 v7, vcc, v9, v12, vcc
	v_cvt_f64_f32_e32 v[8:9], v8
	v_cvt_f64_f32_e32 v[10:11], v10
	v_mul_f64 v[4:5], v[4:5], s[2:3]
	global_store_dwordx2 v[6:7], v[0:1], off
	v_cvt_f32_f64_e32 v0, v[2:3]
	v_mul_f64 v[2:3], v[8:9], s[2:3]
	v_mul_f64 v[8:9], v[10:11], s[2:3]
	v_cvt_f32_f64_e32 v1, v[4:5]
	v_add_co_u32_e32 v4, vcc, s4, v6
	v_cvt_f32_f64_e32 v2, v[2:3]
	v_cvt_f32_f64_e32 v3, v[8:9]
	v_addc_co_u32_e32 v5, vcc, v7, v16, vcc
	global_store_dwordx2 v[4:5], v[0:1], off
	v_add_co_u32_e32 v0, vcc, s4, v4
	v_addc_co_u32_e32 v1, vcc, v5, v16, vcc
	global_store_dwordx2 v[0:1], v[2:3], off
	s_and_b64 exec, exec, s[0:1]
	s_cbranch_execz .LBB0_31
; %bb.30:
	s_movk_i32 s0, 0x2000
	v_add_co_u32_e32 v4, vcc, s0, v70
	global_load_dwordx2 v[2:3], v[70:71], off offset:3696
	v_addc_co_u32_e32 v5, vcc, 0, v71, vcc
	s_movk_i32 s0, 0x3000
	v_add_co_u32_e32 v6, vcc, s0, v70
	global_load_dwordx2 v[4:5], v[4:5], off offset:432
	v_addc_co_u32_e32 v7, vcc, 0, v71, vcc
	global_load_dwordx2 v[6:7], v[6:7], off offset:1264
	ds_read_b64 v[8:9], v107 offset:3696
	ds_read_b64 v[10:11], v107 offset:8624
	;; [unrolled: 1-line block ×3, first 2 shown]
	v_mov_b32_e32 v14, s7
	v_add_co_u32_e32 v0, vcc, s6, v0
	v_addc_co_u32_e32 v1, vcc, v1, v14, vcc
	v_mov_b32_e32 v16, s5
	s_waitcnt vmcnt(2) lgkmcnt(2)
	v_mul_f32_e32 v14, v9, v3
	v_mul_f32_e32 v3, v8, v3
	v_fmac_f32_e32 v14, v8, v2
	v_fma_f32 v8, v2, v9, -v3
	v_cvt_f64_f32_e32 v[2:3], v14
	v_cvt_f64_f32_e32 v[8:9], v8
	s_waitcnt vmcnt(1) lgkmcnt(1)
	v_mul_f32_e32 v14, v11, v5
	v_mul_f32_e32 v5, v10, v5
	v_fmac_f32_e32 v14, v10, v4
	s_waitcnt vmcnt(0) lgkmcnt(0)
	v_mul_f32_e32 v15, v13, v7
	v_mul_f32_e32 v7, v12, v7
	v_fma_f32 v10, v4, v11, -v5
	v_fmac_f32_e32 v15, v12, v6
	v_fma_f32 v12, v6, v13, -v7
	v_cvt_f64_f32_e32 v[4:5], v14
	v_cvt_f64_f32_e32 v[6:7], v10
	;; [unrolled: 1-line block ×4, first 2 shown]
	v_mul_f64 v[2:3], v[2:3], s[2:3]
	v_mul_f64 v[8:9], v[8:9], s[2:3]
	v_mul_f64 v[4:5], v[4:5], s[2:3]
	v_mul_f64 v[6:7], v[6:7], s[2:3]
	v_mul_f64 v[10:11], v[10:11], s[2:3]
	v_mul_f64 v[12:13], v[12:13], s[2:3]
	v_add_co_u32_e32 v14, vcc, s4, v0
	v_cvt_f32_f64_e32 v2, v[2:3]
	v_cvt_f32_f64_e32 v3, v[8:9]
	;; [unrolled: 1-line block ×4, first 2 shown]
	v_addc_co_u32_e32 v15, vcc, v1, v16, vcc
	v_cvt_f32_f64_e32 v6, v[10:11]
	v_cvt_f32_f64_e32 v7, v[12:13]
	v_add_co_u32_e32 v8, vcc, s4, v14
	v_addc_co_u32_e32 v9, vcc, v15, v16, vcc
	global_store_dwordx2 v[0:1], v[2:3], off
	global_store_dwordx2 v[14:15], v[4:5], off
	;; [unrolled: 1-line block ×3, first 2 shown]
.LBB0_31:
	s_endpgm
	.section	.rodata,"a",@progbits
	.p2align	6, 0x0
	.amdhsa_kernel bluestein_single_back_len1848_dim1_sp_op_CI_CI
		.amdhsa_group_segment_fixed_size 14784
		.amdhsa_private_segment_fixed_size 0
		.amdhsa_kernarg_size 104
		.amdhsa_user_sgpr_count 6
		.amdhsa_user_sgpr_private_segment_buffer 1
		.amdhsa_user_sgpr_dispatch_ptr 0
		.amdhsa_user_sgpr_queue_ptr 0
		.amdhsa_user_sgpr_kernarg_segment_ptr 1
		.amdhsa_user_sgpr_dispatch_id 0
		.amdhsa_user_sgpr_flat_scratch_init 0
		.amdhsa_user_sgpr_private_segment_size 0
		.amdhsa_uses_dynamic_stack 0
		.amdhsa_system_sgpr_private_segment_wavefront_offset 0
		.amdhsa_system_sgpr_workgroup_id_x 1
		.amdhsa_system_sgpr_workgroup_id_y 0
		.amdhsa_system_sgpr_workgroup_id_z 0
		.amdhsa_system_sgpr_workgroup_info 0
		.amdhsa_system_vgpr_workitem_id 0
		.amdhsa_next_free_vgpr 198
		.amdhsa_next_free_sgpr 22
		.amdhsa_reserve_vcc 1
		.amdhsa_reserve_flat_scratch 0
		.amdhsa_float_round_mode_32 0
		.amdhsa_float_round_mode_16_64 0
		.amdhsa_float_denorm_mode_32 3
		.amdhsa_float_denorm_mode_16_64 3
		.amdhsa_dx10_clamp 1
		.amdhsa_ieee_mode 1
		.amdhsa_fp16_overflow 0
		.amdhsa_exception_fp_ieee_invalid_op 0
		.amdhsa_exception_fp_denorm_src 0
		.amdhsa_exception_fp_ieee_div_zero 0
		.amdhsa_exception_fp_ieee_overflow 0
		.amdhsa_exception_fp_ieee_underflow 0
		.amdhsa_exception_fp_ieee_inexact 0
		.amdhsa_exception_int_div_zero 0
	.end_amdhsa_kernel
	.text
.Lfunc_end0:
	.size	bluestein_single_back_len1848_dim1_sp_op_CI_CI, .Lfunc_end0-bluestein_single_back_len1848_dim1_sp_op_CI_CI
                                        ; -- End function
	.section	.AMDGPU.csdata,"",@progbits
; Kernel info:
; codeLenInByte = 12608
; NumSgprs: 26
; NumVgprs: 198
; ScratchSize: 0
; MemoryBound: 0
; FloatMode: 240
; IeeeMode: 1
; LDSByteSize: 14784 bytes/workgroup (compile time only)
; SGPRBlocks: 3
; VGPRBlocks: 49
; NumSGPRsForWavesPerEU: 26
; NumVGPRsForWavesPerEU: 198
; Occupancy: 1
; WaveLimiterHint : 1
; COMPUTE_PGM_RSRC2:SCRATCH_EN: 0
; COMPUTE_PGM_RSRC2:USER_SGPR: 6
; COMPUTE_PGM_RSRC2:TRAP_HANDLER: 0
; COMPUTE_PGM_RSRC2:TGID_X_EN: 1
; COMPUTE_PGM_RSRC2:TGID_Y_EN: 0
; COMPUTE_PGM_RSRC2:TGID_Z_EN: 0
; COMPUTE_PGM_RSRC2:TIDIG_COMP_CNT: 0
	.type	__hip_cuid_ccbb08dd3f56f1c,@object ; @__hip_cuid_ccbb08dd3f56f1c
	.section	.bss,"aw",@nobits
	.globl	__hip_cuid_ccbb08dd3f56f1c
__hip_cuid_ccbb08dd3f56f1c:
	.byte	0                               ; 0x0
	.size	__hip_cuid_ccbb08dd3f56f1c, 1

	.ident	"AMD clang version 19.0.0git (https://github.com/RadeonOpenCompute/llvm-project roc-6.4.0 25133 c7fe45cf4b819c5991fe208aaa96edf142730f1d)"
	.section	".note.GNU-stack","",@progbits
	.addrsig
	.addrsig_sym __hip_cuid_ccbb08dd3f56f1c
	.amdgpu_metadata
---
amdhsa.kernels:
  - .args:
      - .actual_access:  read_only
        .address_space:  global
        .offset:         0
        .size:           8
        .value_kind:     global_buffer
      - .actual_access:  read_only
        .address_space:  global
        .offset:         8
        .size:           8
        .value_kind:     global_buffer
      - .actual_access:  read_only
        .address_space:  global
        .offset:         16
        .size:           8
        .value_kind:     global_buffer
      - .actual_access:  read_only
        .address_space:  global
        .offset:         24
        .size:           8
        .value_kind:     global_buffer
      - .actual_access:  read_only
        .address_space:  global
        .offset:         32
        .size:           8
        .value_kind:     global_buffer
      - .offset:         40
        .size:           8
        .value_kind:     by_value
      - .address_space:  global
        .offset:         48
        .size:           8
        .value_kind:     global_buffer
      - .address_space:  global
        .offset:         56
        .size:           8
        .value_kind:     global_buffer
      - .address_space:  global
        .offset:         64
        .size:           8
        .value_kind:     global_buffer
      - .address_space:  global
        .offset:         72
        .size:           8
        .value_kind:     global_buffer
      - .offset:         80
        .size:           4
        .value_kind:     by_value
      - .address_space:  global
        .offset:         88
        .size:           8
        .value_kind:     global_buffer
      - .address_space:  global
        .offset:         96
        .size:           8
        .value_kind:     global_buffer
    .group_segment_fixed_size: 14784
    .kernarg_segment_align: 8
    .kernarg_segment_size: 104
    .language:       OpenCL C
    .language_version:
      - 2
      - 0
    .max_flat_workgroup_size: 231
    .name:           bluestein_single_back_len1848_dim1_sp_op_CI_CI
    .private_segment_fixed_size: 0
    .sgpr_count:     26
    .sgpr_spill_count: 0
    .symbol:         bluestein_single_back_len1848_dim1_sp_op_CI_CI.kd
    .uniform_work_group_size: 1
    .uses_dynamic_stack: false
    .vgpr_count:     198
    .vgpr_spill_count: 0
    .wavefront_size: 64
amdhsa.target:   amdgcn-amd-amdhsa--gfx906
amdhsa.version:
  - 1
  - 2
...

	.end_amdgpu_metadata
